;; amdgpu-corpus repo=vllm-project/vllm kind=compiled arch=gfx942 opt=O3
	.text
	.amdgcn_target "amdgcn-amd-amdhsa--gfx942"
	.amdhsa_code_object_version 6
	.section	.text._ZN4vllm32rms_norm_static_fp8_quant_kernelIfN3c1013Float8_e4m3fnELi16EEEvPT0_PKT_iS7_PKffii,"axG",@progbits,_ZN4vllm32rms_norm_static_fp8_quant_kernelIfN3c1013Float8_e4m3fnELi16EEEvPT0_PKT_iS7_PKffii,comdat
	.protected	_ZN4vllm32rms_norm_static_fp8_quant_kernelIfN3c1013Float8_e4m3fnELi16EEEvPT0_PKT_iS7_PKffii ; -- Begin function _ZN4vllm32rms_norm_static_fp8_quant_kernelIfN3c1013Float8_e4m3fnELi16EEEvPT0_PKT_iS7_PKffii
	.globl	_ZN4vllm32rms_norm_static_fp8_quant_kernelIfN3c1013Float8_e4m3fnELi16EEEvPT0_PKT_iS7_PKffii
	.p2align	8
	.type	_ZN4vllm32rms_norm_static_fp8_quant_kernelIfN3c1013Float8_e4m3fnELi16EEEvPT0_PKT_iS7_PKffii,@function
_ZN4vllm32rms_norm_static_fp8_quant_kernelIfN3c1013Float8_e4m3fnELi16EEEvPT0_PKT_iS7_PKffii: ; @_ZN4vllm32rms_norm_static_fp8_quant_kernelIfN3c1013Float8_e4m3fnELi16EEEvPT0_PKT_iS7_PKffii
; %bb.0:
	s_load_dword s6, s[0:1], 0x10
	s_load_dwordx2 s[4:5], s[0:1], 0x8
	s_load_dword s3, s[0:1], 0x30
	s_load_dword s12, s[0:1], 0x44
	s_mov_b32 s11, 0
	s_waitcnt lgkmcnt(0)
	s_mul_i32 s10, s2, s6
	s_lshl_b64 s[6:7], s[10:11], 2
	s_add_u32 s8, s4, s6
	s_addc_u32 s9, s5, s7
	s_and_b32 s18, s12, 0xffff
	s_and_b32 s10, s8, 63
	s_cmp_lg_u64 s[10:11], 0
	s_cselect_b64 s[10:11], -1, 0
	s_and_b32 s12, s3, 15
	s_cmp_lg_u32 s12, 0
	s_cselect_b64 s[12:13], -1, 0
	s_or_b64 s[10:11], s[10:11], s[12:13]
	s_and_b64 vcc, exec, s[10:11]
	s_cbranch_vccz .LBB0_14
; %bb.1:
	s_sub_i32 s10, 0, s8
	s_bfe_u32 s10, s10, 0x40002
	s_min_i32 s10, s10, s3
	v_cmp_gt_i32_e32 vcc, s10, v0
	v_mov_b32_e32 v3, 0
	s_and_saveexec_b64 s[12:13], vcc
	s_cbranch_execz .LBB0_5
; %bb.2:
	s_add_u32 s16, s4, s6
	v_lshlrev_b32_e32 v2, 2, v0
	v_mov_b32_e32 v3, 0
	s_addc_u32 s17, s5, s7
	s_mov_b32 s15, 0
	v_lshl_add_u64 v[4:5], s[16:17], 0, v[2:3]
	s_lshl_b32 s14, s18, 2
	s_mov_b64 s[16:17], 0
	v_mov_b32_e32 v1, v0
.LBB0_3:                                ; =>This Inner Loop Header: Depth=1
	global_load_dword v2, v[4:5], off
	v_add_u32_e32 v1, s18, v1
	v_cmp_le_i32_e32 vcc, s10, v1
	v_lshl_add_u64 v[4:5], v[4:5], 0, s[14:15]
	s_or_b64 s[16:17], vcc, s[16:17]
	s_waitcnt vmcnt(0)
	v_fmac_f32_e32 v3, v2, v2
	s_andn2_b64 exec, exec, s[16:17]
	s_cbranch_execnz .LBB0_3
; %bb.4:
	s_or_b64 exec, exec, s[16:17]
.LBB0_5:
	s_or_b64 exec, exec, s[12:13]
	s_sub_i32 s19, s3, s10
	s_ashr_i32 s12, s19, 31
	s_lshr_b32 s12, s12, 28
	s_add_i32 s12, s19, s12
	s_ashr_i32 s20, s12, 4
	s_ashr_i32 s11, s10, 31
	v_cmp_gt_i32_e32 vcc, s20, v0
	s_and_saveexec_b64 s[12:13], vcc
	s_cbranch_execz .LBB0_9
; %bb.6:
	s_lshl_b64 s[16:17], s[10:11], 2
	s_add_u32 s14, s4, s6
	s_addc_u32 s21, s5, s7
	s_add_u32 s16, s14, s16
	v_lshlrev_b32_e32 v4, 6, v0
	v_mov_b32_e32 v5, 0
	s_addc_u32 s17, s21, s17
	s_mov_b32 s15, 0
	v_lshl_add_u64 v[4:5], s[16:17], 0, v[4:5]
	s_lshl_b32 s14, s18, 6
	s_mov_b64 s[16:17], 0
	v_mov_b32_e32 v1, v0
.LBB0_7:                                ; =>This Inner Loop Header: Depth=1
	global_load_dwordx4 v[6:9], v[4:5], off
	global_load_dwordx4 v[10:13], v[4:5], off offset:16
	global_load_dwordx4 v[14:17], v[4:5], off offset:32
	;; [unrolled: 1-line block ×3, first 2 shown]
	v_add_u32_e32 v1, s18, v1
	v_cmp_le_i32_e32 vcc, s20, v1
	v_lshl_add_u64 v[4:5], v[4:5], 0, s[14:15]
	s_or_b64 s[16:17], vcc, s[16:17]
	s_waitcnt vmcnt(3)
	v_fmac_f32_e32 v3, v6, v6
	v_fmac_f32_e32 v3, v7, v7
	v_fmac_f32_e32 v3, v8, v8
	v_fmac_f32_e32 v3, v9, v9
	s_waitcnt vmcnt(2)
	v_fmac_f32_e32 v3, v10, v10
	v_fmac_f32_e32 v3, v11, v11
	v_fmac_f32_e32 v3, v12, v12
	v_fmac_f32_e32 v3, v13, v13
	;; [unrolled: 5-line block ×4, first 2 shown]
	s_andn2_b64 exec, exec, s[16:17]
	s_cbranch_execnz .LBB0_7
; %bb.8:
	s_or_b64 exec, exec, s[16:17]
.LBB0_9:
	s_or_b64 exec, exec, s[12:13]
	v_lshl_add_u32 v4, s20, 4, v0
	v_cmp_gt_i32_e32 vcc, s19, v4
	s_and_saveexec_b64 s[12:13], vcc
	s_cbranch_execz .LBB0_13
; %bb.10:
	s_lshl_b64 s[10:11], s[10:11], 2
	s_add_u32 s14, s4, s6
	s_addc_u32 s15, s5, s7
	s_add_u32 s10, s14, s10
	v_ashrrev_i32_e32 v5, 31, v4
	s_addc_u32 s11, s15, s11
	v_lshl_add_u64 v[6:7], v[4:5], 2, s[10:11]
	s_lshl_b32 s10, s18, 2
	s_mov_b32 s11, 0
	s_mov_b64 s[14:15], 0
.LBB0_11:                               ; =>This Inner Loop Header: Depth=1
	global_load_dword v1, v[6:7], off
	v_add_u32_e32 v4, s18, v4
	v_cmp_le_i32_e32 vcc, s19, v4
	v_lshl_add_u64 v[6:7], v[6:7], 0, s[10:11]
	s_or_b64 s[14:15], vcc, s[14:15]
	s_waitcnt vmcnt(0)
	v_fmac_f32_e32 v3, v1, v1
	s_andn2_b64 exec, exec, s[14:15]
	s_cbranch_execnz .LBB0_11
; %bb.12:
	s_or_b64 exec, exec, s[14:15]
.LBB0_13:
	s_or_b64 exec, exec, s[12:13]
	s_branch .LBB0_20
.LBB0_14:
                                        ; implicit-def: $vgpr3
	s_cbranch_execz .LBB0_20
; %bb.15:
	s_ashr_i32 s14, s3, 4
	v_cmp_gt_i32_e32 vcc, s14, v0
	v_mov_b32_e32 v3, 0
	s_and_saveexec_b64 s[10:11], vcc
	s_cbranch_execz .LBB0_19
; %bb.16:
	s_add_u32 s4, s4, s6
	v_lshlrev_b32_e32 v2, 6, v0
	v_mov_b32_e32 v3, 0
	s_addc_u32 s5, s5, s7
	s_mov_b32 s13, 0
	v_lshl_add_u64 v[4:5], s[4:5], 0, v[2:3]
	s_lshl_b32 s12, s18, 6
	s_mov_b64 s[4:5], 0
	v_mov_b32_e32 v1, v0
.LBB0_17:                               ; =>This Inner Loop Header: Depth=1
	global_load_dwordx4 v[6:9], v[4:5], off
	global_load_dwordx4 v[10:13], v[4:5], off offset:16
	global_load_dwordx4 v[14:17], v[4:5], off offset:32
	;; [unrolled: 1-line block ×3, first 2 shown]
	v_add_u32_e32 v1, s18, v1
	v_cmp_le_i32_e32 vcc, s14, v1
	v_lshl_add_u64 v[4:5], v[4:5], 0, s[12:13]
	s_or_b64 s[4:5], vcc, s[4:5]
	s_waitcnt vmcnt(3)
	v_fmac_f32_e32 v3, v6, v6
	v_fmac_f32_e32 v3, v7, v7
	v_fmac_f32_e32 v3, v8, v8
	v_fmac_f32_e32 v3, v9, v9
	s_waitcnt vmcnt(2)
	v_fmac_f32_e32 v3, v10, v10
	v_fmac_f32_e32 v3, v11, v11
	v_fmac_f32_e32 v3, v12, v12
	v_fmac_f32_e32 v3, v13, v13
	;; [unrolled: 5-line block ×4, first 2 shown]
	s_andn2_b64 exec, exec, s[4:5]
	s_cbranch_execnz .LBB0_17
; %bb.18:
	s_or_b64 exec, exec, s[4:5]
.LBB0_19:
	s_or_b64 exec, exec, s[10:11]
.LBB0_20:
	v_mbcnt_lo_u32_b32 v1, -1, 0
	v_mbcnt_hi_u32_b32 v1, -1, v1
	v_and_b32_e32 v2, 63, v1
	v_cmp_ne_u32_e32 vcc, 63, v2
	v_and_b32_e32 v5, 0x3c0, v0
	v_sub_u32_e64 v5, s18, v5 clamp
	v_addc_co_u32_e32 v4, vcc, 0, v1, vcc
	v_lshlrev_b32_e32 v4, 2, v4
	ds_bpermute_b32 v4, v4, v3
	v_add_u32_e32 v6, 1, v1
	v_cmp_lt_u32_e32 vcc, v6, v5
	v_add_u32_e32 v6, 2, v1
	s_waitcnt lgkmcnt(0)
	v_add_f32_e32 v4, v3, v4
	v_cndmask_b32_e32 v3, v3, v4, vcc
	v_cmp_gt_u32_e32 vcc, 62, v2
	s_nop 1
	v_cndmask_b32_e64 v4, 0, 1, vcc
	v_lshlrev_b32_e32 v4, 1, v4
	v_add_lshl_u32 v4, v4, v1, 2
	ds_bpermute_b32 v4, v4, v3
	v_cmp_lt_u32_e32 vcc, v6, v5
	v_add_u32_e32 v6, 4, v1
	s_waitcnt lgkmcnt(0)
	v_add_f32_e32 v4, v3, v4
	v_cndmask_b32_e32 v3, v3, v4, vcc
	v_cmp_gt_u32_e32 vcc, 60, v2
	s_nop 1
	v_cndmask_b32_e64 v4, 0, 1, vcc
	v_lshlrev_b32_e32 v4, 2, v4
	v_add_lshl_u32 v4, v4, v1, 2
	ds_bpermute_b32 v4, v4, v3
	;; [unrolled: 11-line block ×4, first 2 shown]
	v_cmp_lt_u32_e32 vcc, v6, v5
	s_waitcnt lgkmcnt(0)
	v_add_f32_e32 v4, v3, v4
	v_cndmask_b32_e32 v3, v3, v4, vcc
	v_cmp_gt_u32_e32 vcc, 32, v2
	v_add_u32_e32 v4, 32, v1
	s_nop 0
	v_cndmask_b32_e64 v2, 0, 1, vcc
	v_lshlrev_b32_e32 v2, 5, v2
	v_add_lshl_u32 v2, v2, v1, 2
	ds_bpermute_b32 v2, v2, v3
	v_cmp_lt_u32_e32 vcc, v4, v5
	s_waitcnt lgkmcnt(0)
	v_add_f32_e32 v2, v3, v2
	v_cndmask_b32_e32 v2, v3, v2, vcc
	v_cmp_eq_u32_e32 vcc, 0, v1
	s_and_saveexec_b64 s[4:5], vcc
	s_cbranch_execz .LBB0_22
; %bb.21:
	v_lshrrev_b32_e32 v3, 4, v0
	v_and_b32_e32 v3, 60, v3
	ds_write_b32 v3, v2
.LBB0_22:
	s_or_b64 exec, exec, s[4:5]
	v_cmp_gt_u32_e32 vcc, 16, v0
	s_waitcnt lgkmcnt(0)
	s_barrier
	s_and_saveexec_b64 s[6:7], vcc
	s_cbranch_execz .LBB0_24
; %bb.23:
	v_lshlrev_b32_e32 v2, 2, v1
	ds_read_b32 v2, v2
	v_and_b32_e32 v3, 15, v1
	v_cmp_ne_u32_e32 vcc, 15, v3
	s_add_i32 s4, s18, 63
	s_lshr_b32 s10, s4, 6
	v_addc_co_u32_e32 v4, vcc, 0, v1, vcc
	v_lshlrev_b32_e32 v4, 2, v4
	s_waitcnt lgkmcnt(0)
	ds_bpermute_b32 v4, v4, v2
	v_add_u32_e32 v5, 1, v3
	v_cmp_gt_u32_e64 s[4:5], 14, v3
	v_cmp_gt_u32_e32 vcc, s10, v5
	v_add_u32_e32 v6, 2, v3
	v_cndmask_b32_e64 v5, 0, 1, s[4:5]
	s_waitcnt lgkmcnt(0)
	v_add_f32_e32 v4, v2, v4
	v_lshlrev_b32_e32 v5, 1, v5
	v_cndmask_b32_e32 v4, v2, v4, vcc
	v_add_lshl_u32 v5, v5, v1, 2
	ds_bpermute_b32 v5, v5, v4
	v_cmp_gt_u32_e64 s[4:5], s10, v6
	v_add_u32_e32 v6, 4, v3
	s_waitcnt lgkmcnt(0)
	v_add_f32_e32 v5, v4, v5
	v_cndmask_b32_e64 v4, v4, v5, s[4:5]
	v_cmp_gt_u32_e64 s[4:5], 12, v3
	s_nop 1
	v_cndmask_b32_e64 v5, 0, 1, s[4:5]
	v_lshlrev_b32_e32 v5, 2, v5
	v_add_lshl_u32 v5, v5, v1, 2
	ds_bpermute_b32 v5, v5, v4
	v_cmp_gt_u32_e64 s[4:5], s10, v6
	s_waitcnt lgkmcnt(0)
	v_add_f32_e32 v5, v4, v5
	v_cndmask_b32_e64 v4, v4, v5, s[4:5]
	v_cmp_gt_u32_e64 s[4:5], 8, v3
	v_add_u32_e32 v3, 8, v3
	s_nop 0
	v_cndmask_b32_e64 v5, 0, 1, s[4:5]
	v_lshlrev_b32_e32 v5, 3, v5
	v_add_lshl_u32 v1, v5, v1, 2
	ds_bpermute_b32 v1, v1, v4
	v_cmp_gt_u32_e64 s[4:5], s10, v3
	s_waitcnt lgkmcnt(0)
	v_add_f32_e32 v1, v4, v1
	v_cndmask_b32_e64 v1, v4, v1, s[4:5]
	v_cndmask_b32_e32 v2, v2, v1, vcc
.LBB0_24:
	s_or_b64 exec, exec, s[6:7]
	v_cmp_eq_u32_e32 vcc, 0, v0
	s_and_saveexec_b64 s[4:5], vcc
	s_cbranch_execz .LBB0_26
; %bb.25:
	v_cvt_f32_i32_e32 v1, s3
	s_load_dword s10, s[0:1], 0x28
	v_div_scale_f32 v3, s[6:7], v1, v1, v2
	v_rcp_f32_e32 v4, v3
	v_div_scale_f32 v5, vcc, v2, v1, v2
	s_mov_b32 s6, 0x800000
	v_fma_f32 v6, -v3, v4, 1.0
	v_fmac_f32_e32 v4, v6, v4
	v_mul_f32_e32 v6, v5, v4
	v_fma_f32 v7, -v3, v6, v5
	v_fmac_f32_e32 v6, v7, v4
	v_fma_f32 v3, -v3, v6, v5
	v_div_fmas_f32 v3, v3, v4, v6
	v_div_fixup_f32 v1, v3, v1, v2
	s_waitcnt lgkmcnt(0)
	v_add_f32_e32 v1, s10, v1
	v_mul_f32_e32 v2, 0x4b800000, v1
	v_cmp_gt_f32_e32 vcc, s6, v1
	s_nop 1
	v_cndmask_b32_e32 v1, v1, v2, vcc
	v_rsq_f32_e32 v1, v1
	s_nop 0
	v_mul_f32_e32 v2, 0x45800000, v1
	v_cndmask_b32_e32 v1, v1, v2, vcc
	v_mov_b32_e32 v2, 0
	ds_write_b32 v2, v1 offset:64
.LBB0_26:
	s_or_b64 exec, exec, s[4:5]
	s_ashr_i32 s4, s3, 31
	s_lshr_b32 s4, s4, 28
	s_add_i32 s4, s3, s4
	s_ashr_i32 s12, s4, 4
	v_cmp_gt_i32_e32 vcc, s12, v0
	s_waitcnt lgkmcnt(0)
	s_barrier
	s_and_saveexec_b64 s[4:5], vcc
	s_cbranch_execz .LBB0_125
; %bb.27:
	s_load_dwordx4 s[4:7], s[0:1], 0x18
	s_load_dwordx2 s[10:11], s[0:1], 0x0
	s_mul_i32 s2, s2, s3
	v_mov_b32_e32 v35, 0
	ds_read_b32 v1, v35 offset:64
	s_waitcnt lgkmcnt(0)
	s_load_dword s3, s[6:7], 0x0
	s_lshl_b32 s13, s18, 4
	v_lshlrev_b32_e32 v34, 6, v0
	v_lshl_add_u32 v36, v0, 4, s2
	s_lshl_b32 s14, s18, 6
	s_waitcnt lgkmcnt(0)
	v_div_scale_f32 v2, s[0:1], s3, s3, 1.0
	v_rcp_f32_e32 v3, v2
	v_div_scale_f32 v4, vcc, 1.0, s3, 1.0
	s_mov_b64 s[0:1], 0
	v_fma_f32 v5, -v2, v3, 1.0
	v_fmac_f32_e32 v3, v5, v3
	v_mul_f32_e32 v5, v4, v3
	v_fma_f32 v6, -v2, v5, v4
	v_fmac_f32_e32 v5, v6, v3
	v_fma_f32 v2, -v2, v5, v4
	v_div_fmas_f32 v2, v2, v3, v5
	v_div_fixup_f32 v37, v2, s3, 1.0
	s_mov_b32 s15, 0x43f00000
	s_mov_b32 s16, 0x3c7fffff
	s_mov_b32 s17, 0x407ffff
	s_mov_b32 s19, 0x46800000
	s_movk_i32 s20, 0x80
	s_branch .LBB0_30
.LBB0_28:                               ;   in Loop: Header=BB0_30 Depth=1
	s_or_b64 exec, exec, s[6:7]
.LBB0_29:                               ;   in Loop: Header=BB0_30 Depth=1
	s_or_b64 exec, exec, s[2:3]
	s_add_u32 s4, s4, s14
	s_addc_u32 s5, s5, 0
	v_add_u32_e32 v0, s18, v0
	s_add_u32 s8, s8, s14
	v_lshrrev_b32_e32 v3, 24, v3
	s_addc_u32 s9, s9, 0
	v_cmp_le_i32_e32 vcc, s12, v0
	v_and_or_b32 v2, v3, s20, v2
	v_add_u32_e32 v3, 15, v36
	s_or_b64 s[0:1], vcc, s[0:1]
	v_add_u32_e32 v36, s13, v36
	global_store_byte v3, v2, s[10:11]
	s_andn2_b64 exec, exec, s[0:1]
	s_cbranch_execz .LBB0_125
.LBB0_30:                               ; =>This Inner Loop Header: Depth=1
	v_lshl_add_u64 v[38:39], s[8:9], 0, v[34:35]
	global_load_dwordx4 v[26:29], v[38:39], off
	v_lshl_add_u64 v[40:41], s[4:5], 0, v[34:35]
	global_load_dwordx4 v[30:33], v[40:41], off
	global_load_dwordx4 v[18:21], v[38:39], off offset:16
	global_load_dwordx4 v[22:25], v[40:41], off offset:16
	;; [unrolled: 1-line block ×6, first 2 shown]
	v_mov_b32_e32 v38, 0x7f
	s_waitcnt vmcnt(7)
	v_mul_f32_e32 v26, v26, v1
	s_waitcnt vmcnt(6)
	v_mul_f32_e32 v26, v26, v30
	v_mul_f32_e32 v26, v37, v26
	v_min_f32_e32 v26, 0x43e00000, v26
	v_max_f32_e32 v26, 0xc3e00000, v26
	v_and_b32_e32 v39, 0x7fffffff, v26
	v_cmp_gt_u32_e32 vcc, s15, v39
	v_mov_b32_e32 v30, 0x7f
	s_and_saveexec_b64 s[2:3], vcc
	s_cbranch_execz .LBB0_36
; %bb.31:                               ;   in Loop: Header=BB0_30 Depth=1
	v_cmp_lt_u32_e32 vcc, s16, v39
                                        ; implicit-def: $vgpr30
	s_and_saveexec_b64 s[6:7], vcc
	s_xor_b64 s[6:7], exec, s[6:7]
; %bb.32:                               ;   in Loop: Header=BB0_30 Depth=1
	v_bfe_u32 v30, v26, 20, 1
	v_add3_u32 v30, v26, v30, s17
	v_lshrrev_b32_e32 v30, 20, v30
; %bb.33:                               ;   in Loop: Header=BB0_30 Depth=1
	s_andn2_saveexec_b64 s[6:7], s[6:7]
; %bb.34:                               ;   in Loop: Header=BB0_30 Depth=1
	v_add_f32_e64 v30, |v26|, s19
; %bb.35:                               ;   in Loop: Header=BB0_30 Depth=1
	s_or_b64 exec, exec, s[6:7]
.LBB0_36:                               ;   in Loop: Header=BB0_30 Depth=1
	s_or_b64 exec, exec, s[2:3]
	v_lshrrev_b32_e32 v26, 24, v26
	v_and_or_b32 v26, v26, s20, v30
	global_store_byte v36, v26, s[10:11]
	v_mul_f32_e32 v26, v27, v1
	v_mul_f32_e32 v26, v26, v31
	;; [unrolled: 1-line block ×3, first 2 shown]
	v_min_f32_e32 v26, 0x43e00000, v26
	v_max_f32_e32 v26, 0xc3e00000, v26
	v_and_b32_e32 v27, 0x7fffffff, v26
	v_cmp_gt_u32_e32 vcc, s15, v27
	s_and_saveexec_b64 s[2:3], vcc
	s_cbranch_execz .LBB0_42
; %bb.37:                               ;   in Loop: Header=BB0_30 Depth=1
	v_cmp_lt_u32_e32 vcc, s16, v27
                                        ; implicit-def: $vgpr38
	s_and_saveexec_b64 s[6:7], vcc
	s_xor_b64 s[6:7], exec, s[6:7]
; %bb.38:                               ;   in Loop: Header=BB0_30 Depth=1
	v_bfe_u32 v27, v26, 20, 1
	v_add3_u32 v27, v26, v27, s17
	v_lshrrev_b32_e32 v38, 20, v27
; %bb.39:                               ;   in Loop: Header=BB0_30 Depth=1
	s_andn2_saveexec_b64 s[6:7], s[6:7]
; %bb.40:                               ;   in Loop: Header=BB0_30 Depth=1
	v_add_f32_e64 v38, |v26|, s19
; %bb.41:                               ;   in Loop: Header=BB0_30 Depth=1
	s_or_b64 exec, exec, s[6:7]
.LBB0_42:                               ;   in Loop: Header=BB0_30 Depth=1
	s_or_b64 exec, exec, s[2:3]
	v_lshrrev_b32_e32 v26, 24, v26
	v_and_or_b32 v26, v26, s20, v38
	v_add_u32_e32 v27, 1, v36
	global_store_byte v27, v26, s[10:11]
	v_mul_f32_e32 v26, v28, v1
	v_mul_f32_e32 v26, v26, v32
	;; [unrolled: 1-line block ×3, first 2 shown]
	v_min_f32_e32 v26, 0x43e00000, v26
	v_max_f32_e32 v27, 0xc3e00000, v26
	v_and_b32_e32 v30, 0x7fffffff, v27
	v_cmp_gt_u32_e32 vcc, s15, v30
	v_mov_b32_e32 v26, 0x7f
	v_mov_b32_e32 v28, 0x7f
	s_and_saveexec_b64 s[2:3], vcc
	s_cbranch_execz .LBB0_48
; %bb.43:                               ;   in Loop: Header=BB0_30 Depth=1
	v_cmp_lt_u32_e32 vcc, s16, v30
                                        ; implicit-def: $vgpr28
	s_and_saveexec_b64 s[6:7], vcc
	s_xor_b64 s[6:7], exec, s[6:7]
; %bb.44:                               ;   in Loop: Header=BB0_30 Depth=1
	v_bfe_u32 v28, v27, 20, 1
	v_add3_u32 v28, v27, v28, s17
	v_lshrrev_b32_e32 v28, 20, v28
; %bb.45:                               ;   in Loop: Header=BB0_30 Depth=1
	s_andn2_saveexec_b64 s[6:7], s[6:7]
; %bb.46:                               ;   in Loop: Header=BB0_30 Depth=1
	v_add_f32_e64 v28, |v27|, s19
; %bb.47:                               ;   in Loop: Header=BB0_30 Depth=1
	s_or_b64 exec, exec, s[6:7]
.LBB0_48:                               ;   in Loop: Header=BB0_30 Depth=1
	s_or_b64 exec, exec, s[2:3]
	v_lshrrev_b32_e32 v27, 24, v27
	v_and_or_b32 v27, v27, s20, v28
	v_add_u32_e32 v28, 2, v36
	global_store_byte v28, v27, s[10:11]
	v_mul_f32_e32 v27, v29, v1
	v_mul_f32_e32 v27, v27, v33
	;; [unrolled: 1-line block ×3, first 2 shown]
	v_min_f32_e32 v27, 0x43e00000, v27
	v_max_f32_e32 v27, 0xc3e00000, v27
	v_and_b32_e32 v28, 0x7fffffff, v27
	v_cmp_gt_u32_e32 vcc, s15, v28
	s_and_saveexec_b64 s[2:3], vcc
	s_cbranch_execz .LBB0_54
; %bb.49:                               ;   in Loop: Header=BB0_30 Depth=1
	v_cmp_lt_u32_e32 vcc, s16, v28
                                        ; implicit-def: $vgpr26
	s_and_saveexec_b64 s[6:7], vcc
	s_xor_b64 s[6:7], exec, s[6:7]
; %bb.50:                               ;   in Loop: Header=BB0_30 Depth=1
	v_bfe_u32 v26, v27, 20, 1
	v_add3_u32 v26, v27, v26, s17
	v_lshrrev_b32_e32 v26, 20, v26
; %bb.51:                               ;   in Loop: Header=BB0_30 Depth=1
	s_andn2_saveexec_b64 s[6:7], s[6:7]
; %bb.52:                               ;   in Loop: Header=BB0_30 Depth=1
	v_add_f32_e64 v26, |v27|, s19
; %bb.53:                               ;   in Loop: Header=BB0_30 Depth=1
	s_or_b64 exec, exec, s[6:7]
.LBB0_54:                               ;   in Loop: Header=BB0_30 Depth=1
	s_or_b64 exec, exec, s[2:3]
	s_waitcnt vmcnt(8)
	v_mul_f32_e32 v18, v18, v1
	s_waitcnt vmcnt(7)
	v_mul_f32_e32 v18, v18, v22
	v_mul_f32_e32 v18, v37, v18
	v_lshrrev_b32_e32 v27, 24, v27
	v_min_f32_e32 v18, 0x43e00000, v18
	v_and_or_b32 v26, v27, s20, v26
	v_add_u32_e32 v27, 3, v36
	v_max_f32_e32 v22, 0xc3e00000, v18
	global_store_byte v27, v26, s[10:11]
	v_and_b32_e32 v27, 0x7fffffff, v22
	v_cmp_gt_u32_e32 vcc, s15, v27
	v_mov_b32_e32 v18, 0x7f
	v_mov_b32_e32 v26, 0x7f
	s_and_saveexec_b64 s[2:3], vcc
	s_cbranch_execz .LBB0_60
; %bb.55:                               ;   in Loop: Header=BB0_30 Depth=1
	v_cmp_lt_u32_e32 vcc, s16, v27
                                        ; implicit-def: $vgpr26
	s_and_saveexec_b64 s[6:7], vcc
	s_xor_b64 s[6:7], exec, s[6:7]
; %bb.56:                               ;   in Loop: Header=BB0_30 Depth=1
	v_bfe_u32 v26, v22, 20, 1
	v_add3_u32 v26, v22, v26, s17
	v_lshrrev_b32_e32 v26, 20, v26
; %bb.57:                               ;   in Loop: Header=BB0_30 Depth=1
	s_andn2_saveexec_b64 s[6:7], s[6:7]
; %bb.58:                               ;   in Loop: Header=BB0_30 Depth=1
	v_add_f32_e64 v26, |v22|, s19
; %bb.59:                               ;   in Loop: Header=BB0_30 Depth=1
	s_or_b64 exec, exec, s[6:7]
.LBB0_60:                               ;   in Loop: Header=BB0_30 Depth=1
	s_or_b64 exec, exec, s[2:3]
	v_mul_f32_e32 v19, v19, v1
	v_mul_f32_e32 v19, v19, v23
	;; [unrolled: 1-line block ×3, first 2 shown]
	v_lshrrev_b32_e32 v22, 24, v22
	v_min_f32_e32 v19, 0x43e00000, v19
	v_and_or_b32 v22, v22, s20, v26
	v_add_u32_e32 v26, 4, v36
	v_max_f32_e32 v19, 0xc3e00000, v19
	global_store_byte v26, v22, s[10:11]
	v_and_b32_e32 v22, 0x7fffffff, v19
	v_cmp_gt_u32_e32 vcc, s15, v22
	s_and_saveexec_b64 s[2:3], vcc
	s_cbranch_execz .LBB0_66
; %bb.61:                               ;   in Loop: Header=BB0_30 Depth=1
	v_cmp_lt_u32_e32 vcc, s16, v22
                                        ; implicit-def: $vgpr18
	s_and_saveexec_b64 s[6:7], vcc
	s_xor_b64 s[6:7], exec, s[6:7]
; %bb.62:                               ;   in Loop: Header=BB0_30 Depth=1
	v_bfe_u32 v18, v19, 20, 1
	v_add3_u32 v18, v19, v18, s17
	v_lshrrev_b32_e32 v18, 20, v18
; %bb.63:                               ;   in Loop: Header=BB0_30 Depth=1
	s_andn2_saveexec_b64 s[6:7], s[6:7]
; %bb.64:                               ;   in Loop: Header=BB0_30 Depth=1
	v_add_f32_e64 v18, |v19|, s19
; %bb.65:                               ;   in Loop: Header=BB0_30 Depth=1
	s_or_b64 exec, exec, s[6:7]
.LBB0_66:                               ;   in Loop: Header=BB0_30 Depth=1
	s_or_b64 exec, exec, s[2:3]
	v_lshrrev_b32_e32 v19, 24, v19
	v_and_or_b32 v18, v19, s20, v18
	v_add_u32_e32 v19, 5, v36
	global_store_byte v19, v18, s[10:11]
	v_mul_f32_e32 v18, v20, v1
	v_mul_f32_e32 v18, v18, v24
	;; [unrolled: 1-line block ×3, first 2 shown]
	v_min_f32_e32 v18, 0x43e00000, v18
	v_max_f32_e32 v19, 0xc3e00000, v18
	v_and_b32_e32 v22, 0x7fffffff, v19
	v_cmp_gt_u32_e32 vcc, s15, v22
	v_mov_b32_e32 v18, 0x7f
	v_mov_b32_e32 v20, 0x7f
	s_and_saveexec_b64 s[2:3], vcc
	s_cbranch_execz .LBB0_72
; %bb.67:                               ;   in Loop: Header=BB0_30 Depth=1
	v_cmp_lt_u32_e32 vcc, s16, v22
                                        ; implicit-def: $vgpr20
	s_and_saveexec_b64 s[6:7], vcc
	s_xor_b64 s[6:7], exec, s[6:7]
; %bb.68:                               ;   in Loop: Header=BB0_30 Depth=1
	v_bfe_u32 v20, v19, 20, 1
	v_add3_u32 v20, v19, v20, s17
	v_lshrrev_b32_e32 v20, 20, v20
; %bb.69:                               ;   in Loop: Header=BB0_30 Depth=1
	s_andn2_saveexec_b64 s[6:7], s[6:7]
; %bb.70:                               ;   in Loop: Header=BB0_30 Depth=1
	v_add_f32_e64 v20, |v19|, s19
; %bb.71:                               ;   in Loop: Header=BB0_30 Depth=1
	s_or_b64 exec, exec, s[6:7]
.LBB0_72:                               ;   in Loop: Header=BB0_30 Depth=1
	s_or_b64 exec, exec, s[2:3]
	v_lshrrev_b32_e32 v19, 24, v19
	v_and_or_b32 v19, v19, s20, v20
	v_add_u32_e32 v20, 6, v36
	global_store_byte v20, v19, s[10:11]
	v_mul_f32_e32 v19, v21, v1
	v_mul_f32_e32 v19, v19, v25
	;; [unrolled: 1-line block ×3, first 2 shown]
	v_min_f32_e32 v19, 0x43e00000, v19
	v_max_f32_e32 v19, 0xc3e00000, v19
	v_and_b32_e32 v20, 0x7fffffff, v19
	v_cmp_gt_u32_e32 vcc, s15, v20
	s_and_saveexec_b64 s[2:3], vcc
	s_cbranch_execz .LBB0_78
; %bb.73:                               ;   in Loop: Header=BB0_30 Depth=1
	v_cmp_lt_u32_e32 vcc, s16, v20
                                        ; implicit-def: $vgpr18
	s_and_saveexec_b64 s[6:7], vcc
	s_xor_b64 s[6:7], exec, s[6:7]
; %bb.74:                               ;   in Loop: Header=BB0_30 Depth=1
	v_bfe_u32 v18, v19, 20, 1
	v_add3_u32 v18, v19, v18, s17
	v_lshrrev_b32_e32 v18, 20, v18
; %bb.75:                               ;   in Loop: Header=BB0_30 Depth=1
	s_andn2_saveexec_b64 s[6:7], s[6:7]
; %bb.76:                               ;   in Loop: Header=BB0_30 Depth=1
	v_add_f32_e64 v18, |v19|, s19
; %bb.77:                               ;   in Loop: Header=BB0_30 Depth=1
	s_or_b64 exec, exec, s[6:7]
.LBB0_78:                               ;   in Loop: Header=BB0_30 Depth=1
	s_or_b64 exec, exec, s[2:3]
	s_waitcnt vmcnt(9)
	v_mul_f32_e32 v10, v10, v1
	s_waitcnt vmcnt(7)
	v_mul_f32_e32 v10, v10, v14
	v_mul_f32_e32 v10, v37, v10
	v_lshrrev_b32_e32 v19, 24, v19
	v_min_f32_e32 v10, 0x43e00000, v10
	v_and_or_b32 v18, v19, s20, v18
	v_add_u32_e32 v19, 7, v36
	v_max_f32_e32 v14, 0xc3e00000, v10
	global_store_byte v19, v18, s[10:11]
	v_and_b32_e32 v19, 0x7fffffff, v14
	v_cmp_gt_u32_e32 vcc, s15, v19
	v_mov_b32_e32 v10, 0x7f
	v_mov_b32_e32 v18, 0x7f
	s_and_saveexec_b64 s[2:3], vcc
	s_cbranch_execz .LBB0_84
; %bb.79:                               ;   in Loop: Header=BB0_30 Depth=1
	v_cmp_lt_u32_e32 vcc, s16, v19
                                        ; implicit-def: $vgpr18
	s_and_saveexec_b64 s[6:7], vcc
	s_xor_b64 s[6:7], exec, s[6:7]
; %bb.80:                               ;   in Loop: Header=BB0_30 Depth=1
	v_bfe_u32 v18, v14, 20, 1
	v_add3_u32 v18, v14, v18, s17
	v_lshrrev_b32_e32 v18, 20, v18
; %bb.81:                               ;   in Loop: Header=BB0_30 Depth=1
	s_andn2_saveexec_b64 s[6:7], s[6:7]
; %bb.82:                               ;   in Loop: Header=BB0_30 Depth=1
	v_add_f32_e64 v18, |v14|, s19
; %bb.83:                               ;   in Loop: Header=BB0_30 Depth=1
	s_or_b64 exec, exec, s[6:7]
.LBB0_84:                               ;   in Loop: Header=BB0_30 Depth=1
	s_or_b64 exec, exec, s[2:3]
	v_mul_f32_e32 v11, v11, v1
	v_mul_f32_e32 v11, v11, v15
	;; [unrolled: 1-line block ×3, first 2 shown]
	v_lshrrev_b32_e32 v14, 24, v14
	v_min_f32_e32 v11, 0x43e00000, v11
	v_and_or_b32 v14, v14, s20, v18
	v_add_u32_e32 v18, 8, v36
	v_max_f32_e32 v11, 0xc3e00000, v11
	global_store_byte v18, v14, s[10:11]
	v_and_b32_e32 v14, 0x7fffffff, v11
	v_cmp_gt_u32_e32 vcc, s15, v14
	s_and_saveexec_b64 s[2:3], vcc
	s_cbranch_execz .LBB0_90
; %bb.85:                               ;   in Loop: Header=BB0_30 Depth=1
	v_cmp_lt_u32_e32 vcc, s16, v14
                                        ; implicit-def: $vgpr10
	s_and_saveexec_b64 s[6:7], vcc
	s_xor_b64 s[6:7], exec, s[6:7]
; %bb.86:                               ;   in Loop: Header=BB0_30 Depth=1
	v_bfe_u32 v10, v11, 20, 1
	v_add3_u32 v10, v11, v10, s17
	v_lshrrev_b32_e32 v10, 20, v10
; %bb.87:                               ;   in Loop: Header=BB0_30 Depth=1
	s_andn2_saveexec_b64 s[6:7], s[6:7]
; %bb.88:                               ;   in Loop: Header=BB0_30 Depth=1
	v_add_f32_e64 v10, |v11|, s19
; %bb.89:                               ;   in Loop: Header=BB0_30 Depth=1
	s_or_b64 exec, exec, s[6:7]
.LBB0_90:                               ;   in Loop: Header=BB0_30 Depth=1
	s_or_b64 exec, exec, s[2:3]
	v_lshrrev_b32_e32 v11, 24, v11
	v_and_or_b32 v10, v11, s20, v10
	v_add_u32_e32 v11, 9, v36
	global_store_byte v11, v10, s[10:11]
	v_mul_f32_e32 v10, v12, v1
	v_mul_f32_e32 v10, v10, v16
	;; [unrolled: 1-line block ×3, first 2 shown]
	v_min_f32_e32 v10, 0x43e00000, v10
	v_max_f32_e32 v11, 0xc3e00000, v10
	v_and_b32_e32 v14, 0x7fffffff, v11
	v_cmp_gt_u32_e32 vcc, s15, v14
	v_mov_b32_e32 v10, 0x7f
	v_mov_b32_e32 v12, 0x7f
	s_and_saveexec_b64 s[2:3], vcc
	s_cbranch_execz .LBB0_96
; %bb.91:                               ;   in Loop: Header=BB0_30 Depth=1
	v_cmp_lt_u32_e32 vcc, s16, v14
                                        ; implicit-def: $vgpr12
	s_and_saveexec_b64 s[6:7], vcc
	s_xor_b64 s[6:7], exec, s[6:7]
; %bb.92:                               ;   in Loop: Header=BB0_30 Depth=1
	v_bfe_u32 v12, v11, 20, 1
	v_add3_u32 v12, v11, v12, s17
	v_lshrrev_b32_e32 v12, 20, v12
; %bb.93:                               ;   in Loop: Header=BB0_30 Depth=1
	s_andn2_saveexec_b64 s[6:7], s[6:7]
; %bb.94:                               ;   in Loop: Header=BB0_30 Depth=1
	v_add_f32_e64 v12, |v11|, s19
; %bb.95:                               ;   in Loop: Header=BB0_30 Depth=1
	s_or_b64 exec, exec, s[6:7]
.LBB0_96:                               ;   in Loop: Header=BB0_30 Depth=1
	s_or_b64 exec, exec, s[2:3]
	v_lshrrev_b32_e32 v11, 24, v11
	v_and_or_b32 v11, v11, s20, v12
	v_add_u32_e32 v12, 10, v36
	global_store_byte v12, v11, s[10:11]
	v_mul_f32_e32 v11, v13, v1
	v_mul_f32_e32 v11, v11, v17
	;; [unrolled: 1-line block ×3, first 2 shown]
	v_min_f32_e32 v11, 0x43e00000, v11
	v_max_f32_e32 v11, 0xc3e00000, v11
	v_and_b32_e32 v12, 0x7fffffff, v11
	v_cmp_gt_u32_e32 vcc, s15, v12
	s_and_saveexec_b64 s[2:3], vcc
	s_cbranch_execz .LBB0_102
; %bb.97:                               ;   in Loop: Header=BB0_30 Depth=1
	v_cmp_lt_u32_e32 vcc, s16, v12
                                        ; implicit-def: $vgpr10
	s_and_saveexec_b64 s[6:7], vcc
	s_xor_b64 s[6:7], exec, s[6:7]
; %bb.98:                               ;   in Loop: Header=BB0_30 Depth=1
	v_bfe_u32 v10, v11, 20, 1
	v_add3_u32 v10, v11, v10, s17
	v_lshrrev_b32_e32 v10, 20, v10
; %bb.99:                               ;   in Loop: Header=BB0_30 Depth=1
	s_andn2_saveexec_b64 s[6:7], s[6:7]
; %bb.100:                              ;   in Loop: Header=BB0_30 Depth=1
	v_add_f32_e64 v10, |v11|, s19
; %bb.101:                              ;   in Loop: Header=BB0_30 Depth=1
	s_or_b64 exec, exec, s[6:7]
.LBB0_102:                              ;   in Loop: Header=BB0_30 Depth=1
	s_or_b64 exec, exec, s[2:3]
	v_mul_f32_e32 v2, v2, v1
	v_mul_f32_e32 v2, v2, v6
	;; [unrolled: 1-line block ×3, first 2 shown]
	v_lshrrev_b32_e32 v11, 24, v11
	v_min_f32_e32 v2, 0x43e00000, v2
	v_and_or_b32 v10, v11, s20, v10
	v_add_u32_e32 v11, 11, v36
	v_max_f32_e32 v6, 0xc3e00000, v2
	global_store_byte v11, v10, s[10:11]
	v_and_b32_e32 v11, 0x7fffffff, v6
	v_cmp_gt_u32_e32 vcc, s15, v11
	v_mov_b32_e32 v2, 0x7f
	v_mov_b32_e32 v10, 0x7f
	s_and_saveexec_b64 s[2:3], vcc
	s_cbranch_execz .LBB0_108
; %bb.103:                              ;   in Loop: Header=BB0_30 Depth=1
	v_cmp_lt_u32_e32 vcc, s16, v11
                                        ; implicit-def: $vgpr10
	s_and_saveexec_b64 s[6:7], vcc
	s_xor_b64 s[6:7], exec, s[6:7]
; %bb.104:                              ;   in Loop: Header=BB0_30 Depth=1
	v_bfe_u32 v10, v6, 20, 1
	v_add3_u32 v10, v6, v10, s17
	v_lshrrev_b32_e32 v10, 20, v10
; %bb.105:                              ;   in Loop: Header=BB0_30 Depth=1
	s_andn2_saveexec_b64 s[6:7], s[6:7]
; %bb.106:                              ;   in Loop: Header=BB0_30 Depth=1
	v_add_f32_e64 v10, |v6|, s19
; %bb.107:                              ;   in Loop: Header=BB0_30 Depth=1
	s_or_b64 exec, exec, s[6:7]
.LBB0_108:                              ;   in Loop: Header=BB0_30 Depth=1
	s_or_b64 exec, exec, s[2:3]
	v_mul_f32_e32 v3, v3, v1
	v_mul_f32_e32 v3, v3, v7
	v_mul_f32_e32 v3, v37, v3
	v_lshrrev_b32_e32 v6, 24, v6
	v_min_f32_e32 v3, 0x43e00000, v3
	v_and_or_b32 v6, v6, s20, v10
	v_add_u32_e32 v10, 12, v36
	v_max_f32_e32 v3, 0xc3e00000, v3
	global_store_byte v10, v6, s[10:11]
	v_and_b32_e32 v6, 0x7fffffff, v3
	v_cmp_gt_u32_e32 vcc, s15, v6
	s_and_saveexec_b64 s[2:3], vcc
	s_cbranch_execz .LBB0_114
; %bb.109:                              ;   in Loop: Header=BB0_30 Depth=1
	v_cmp_lt_u32_e32 vcc, s16, v6
                                        ; implicit-def: $vgpr2
	s_and_saveexec_b64 s[6:7], vcc
	s_xor_b64 s[6:7], exec, s[6:7]
; %bb.110:                              ;   in Loop: Header=BB0_30 Depth=1
	v_bfe_u32 v2, v3, 20, 1
	v_add3_u32 v2, v3, v2, s17
	v_lshrrev_b32_e32 v2, 20, v2
; %bb.111:                              ;   in Loop: Header=BB0_30 Depth=1
	s_andn2_saveexec_b64 s[6:7], s[6:7]
; %bb.112:                              ;   in Loop: Header=BB0_30 Depth=1
	v_add_f32_e64 v2, |v3|, s19
; %bb.113:                              ;   in Loop: Header=BB0_30 Depth=1
	s_or_b64 exec, exec, s[6:7]
.LBB0_114:                              ;   in Loop: Header=BB0_30 Depth=1
	s_or_b64 exec, exec, s[2:3]
	v_lshrrev_b32_e32 v3, 24, v3
	v_and_or_b32 v2, v3, s20, v2
	v_add_u32_e32 v3, 13, v36
	global_store_byte v3, v2, s[10:11]
	v_mul_f32_e32 v2, v4, v1
	v_mul_f32_e32 v2, v2, v8
	;; [unrolled: 1-line block ×3, first 2 shown]
	v_min_f32_e32 v2, 0x43e00000, v2
	v_max_f32_e32 v3, 0xc3e00000, v2
	v_and_b32_e32 v6, 0x7fffffff, v3
	v_cmp_gt_u32_e32 vcc, s15, v6
	v_mov_b32_e32 v2, 0x7f
	v_mov_b32_e32 v4, 0x7f
	s_and_saveexec_b64 s[2:3], vcc
	s_cbranch_execz .LBB0_120
; %bb.115:                              ;   in Loop: Header=BB0_30 Depth=1
	v_cmp_lt_u32_e32 vcc, s16, v6
                                        ; implicit-def: $vgpr4
	s_and_saveexec_b64 s[6:7], vcc
	s_xor_b64 s[6:7], exec, s[6:7]
; %bb.116:                              ;   in Loop: Header=BB0_30 Depth=1
	v_bfe_u32 v4, v3, 20, 1
	v_add3_u32 v4, v3, v4, s17
	v_lshrrev_b32_e32 v4, 20, v4
; %bb.117:                              ;   in Loop: Header=BB0_30 Depth=1
	s_andn2_saveexec_b64 s[6:7], s[6:7]
; %bb.118:                              ;   in Loop: Header=BB0_30 Depth=1
	v_add_f32_e64 v4, |v3|, s19
; %bb.119:                              ;   in Loop: Header=BB0_30 Depth=1
	s_or_b64 exec, exec, s[6:7]
.LBB0_120:                              ;   in Loop: Header=BB0_30 Depth=1
	s_or_b64 exec, exec, s[2:3]
	v_lshrrev_b32_e32 v3, 24, v3
	v_and_or_b32 v3, v3, s20, v4
	v_add_u32_e32 v4, 14, v36
	global_store_byte v4, v3, s[10:11]
	v_mul_f32_e32 v3, v5, v1
	v_mul_f32_e32 v3, v3, v9
	;; [unrolled: 1-line block ×3, first 2 shown]
	v_min_f32_e32 v3, 0x43e00000, v3
	v_max_f32_e32 v3, 0xc3e00000, v3
	v_and_b32_e32 v4, 0x7fffffff, v3
	v_cmp_gt_u32_e32 vcc, s15, v4
	s_and_saveexec_b64 s[2:3], vcc
	s_cbranch_execz .LBB0_29
; %bb.121:                              ;   in Loop: Header=BB0_30 Depth=1
	v_cmp_lt_u32_e32 vcc, s16, v4
                                        ; implicit-def: $vgpr2
	s_and_saveexec_b64 s[6:7], vcc
	s_xor_b64 s[6:7], exec, s[6:7]
; %bb.122:                              ;   in Loop: Header=BB0_30 Depth=1
	v_bfe_u32 v2, v3, 20, 1
	v_add3_u32 v2, v3, v2, s17
	v_lshrrev_b32_e32 v2, 20, v2
; %bb.123:                              ;   in Loop: Header=BB0_30 Depth=1
	s_andn2_saveexec_b64 s[6:7], s[6:7]
	s_cbranch_execz .LBB0_28
; %bb.124:                              ;   in Loop: Header=BB0_30 Depth=1
	v_add_f32_e64 v2, |v3|, s19
	s_branch .LBB0_28
.LBB0_125:
	s_endpgm
	.section	.rodata,"a",@progbits
	.p2align	6, 0x0
	.amdhsa_kernel _ZN4vllm32rms_norm_static_fp8_quant_kernelIfN3c1013Float8_e4m3fnELi16EEEvPT0_PKT_iS7_PKffii
		.amdhsa_group_segment_fixed_size 68
		.amdhsa_private_segment_fixed_size 0
		.amdhsa_kernarg_size 312
		.amdhsa_user_sgpr_count 2
		.amdhsa_user_sgpr_dispatch_ptr 0
		.amdhsa_user_sgpr_queue_ptr 0
		.amdhsa_user_sgpr_kernarg_segment_ptr 1
		.amdhsa_user_sgpr_dispatch_id 0
		.amdhsa_user_sgpr_kernarg_preload_length 0
		.amdhsa_user_sgpr_kernarg_preload_offset 0
		.amdhsa_user_sgpr_private_segment_size 0
		.amdhsa_uses_dynamic_stack 0
		.amdhsa_enable_private_segment 0
		.amdhsa_system_sgpr_workgroup_id_x 1
		.amdhsa_system_sgpr_workgroup_id_y 0
		.amdhsa_system_sgpr_workgroup_id_z 0
		.amdhsa_system_sgpr_workgroup_info 0
		.amdhsa_system_vgpr_workitem_id 0
		.amdhsa_next_free_vgpr 42
		.amdhsa_next_free_sgpr 22
		.amdhsa_accum_offset 44
		.amdhsa_reserve_vcc 1
		.amdhsa_float_round_mode_32 0
		.amdhsa_float_round_mode_16_64 0
		.amdhsa_float_denorm_mode_32 3
		.amdhsa_float_denorm_mode_16_64 3
		.amdhsa_dx10_clamp 1
		.amdhsa_ieee_mode 1
		.amdhsa_fp16_overflow 0
		.amdhsa_tg_split 0
		.amdhsa_exception_fp_ieee_invalid_op 0
		.amdhsa_exception_fp_denorm_src 0
		.amdhsa_exception_fp_ieee_div_zero 0
		.amdhsa_exception_fp_ieee_overflow 0
		.amdhsa_exception_fp_ieee_underflow 0
		.amdhsa_exception_fp_ieee_inexact 0
		.amdhsa_exception_int_div_zero 0
	.end_amdhsa_kernel
	.section	.text._ZN4vllm32rms_norm_static_fp8_quant_kernelIfN3c1013Float8_e4m3fnELi16EEEvPT0_PKT_iS7_PKffii,"axG",@progbits,_ZN4vllm32rms_norm_static_fp8_quant_kernelIfN3c1013Float8_e4m3fnELi16EEEvPT0_PKT_iS7_PKffii,comdat
.Lfunc_end0:
	.size	_ZN4vllm32rms_norm_static_fp8_quant_kernelIfN3c1013Float8_e4m3fnELi16EEEvPT0_PKT_iS7_PKffii, .Lfunc_end0-_ZN4vllm32rms_norm_static_fp8_quant_kernelIfN3c1013Float8_e4m3fnELi16EEEvPT0_PKT_iS7_PKffii
                                        ; -- End function
	.section	.AMDGPU.csdata,"",@progbits
; Kernel info:
; codeLenInByte = 4128
; NumSgprs: 28
; NumVgprs: 42
; NumAgprs: 0
; TotalNumVgprs: 42
; ScratchSize: 0
; MemoryBound: 1
; FloatMode: 240
; IeeeMode: 1
; LDSByteSize: 68 bytes/workgroup (compile time only)
; SGPRBlocks: 3
; VGPRBlocks: 5
; NumSGPRsForWavesPerEU: 28
; NumVGPRsForWavesPerEU: 42
; AccumOffset: 44
; Occupancy: 8
; WaveLimiterHint : 0
; COMPUTE_PGM_RSRC2:SCRATCH_EN: 0
; COMPUTE_PGM_RSRC2:USER_SGPR: 2
; COMPUTE_PGM_RSRC2:TRAP_HANDLER: 0
; COMPUTE_PGM_RSRC2:TGID_X_EN: 1
; COMPUTE_PGM_RSRC2:TGID_Y_EN: 0
; COMPUTE_PGM_RSRC2:TGID_Z_EN: 0
; COMPUTE_PGM_RSRC2:TIDIG_COMP_CNT: 0
; COMPUTE_PGM_RSRC3_GFX90A:ACCUM_OFFSET: 10
; COMPUTE_PGM_RSRC3_GFX90A:TG_SPLIT: 0
	.section	.text._ZN4vllm32rms_norm_static_fp8_quant_kernelIfN3c1013Float8_e4m3fnELi8EEEvPT0_PKT_iS7_PKffii,"axG",@progbits,_ZN4vllm32rms_norm_static_fp8_quant_kernelIfN3c1013Float8_e4m3fnELi8EEEvPT0_PKT_iS7_PKffii,comdat
	.protected	_ZN4vllm32rms_norm_static_fp8_quant_kernelIfN3c1013Float8_e4m3fnELi8EEEvPT0_PKT_iS7_PKffii ; -- Begin function _ZN4vllm32rms_norm_static_fp8_quant_kernelIfN3c1013Float8_e4m3fnELi8EEEvPT0_PKT_iS7_PKffii
	.globl	_ZN4vllm32rms_norm_static_fp8_quant_kernelIfN3c1013Float8_e4m3fnELi8EEEvPT0_PKT_iS7_PKffii
	.p2align	8
	.type	_ZN4vllm32rms_norm_static_fp8_quant_kernelIfN3c1013Float8_e4m3fnELi8EEEvPT0_PKT_iS7_PKffii,@function
_ZN4vllm32rms_norm_static_fp8_quant_kernelIfN3c1013Float8_e4m3fnELi8EEEvPT0_PKT_iS7_PKffii: ; @_ZN4vllm32rms_norm_static_fp8_quant_kernelIfN3c1013Float8_e4m3fnELi8EEEvPT0_PKT_iS7_PKffii
; %bb.0:
	s_load_dword s6, s[0:1], 0x10
	s_load_dwordx2 s[4:5], s[0:1], 0x8
	s_load_dword s3, s[0:1], 0x30
	s_load_dword s12, s[0:1], 0x44
	s_mov_b32 s11, 0
	s_waitcnt lgkmcnt(0)
	s_mul_i32 s10, s2, s6
	s_lshl_b64 s[6:7], s[10:11], 2
	s_add_u32 s8, s4, s6
	s_addc_u32 s9, s5, s7
	s_and_b32 s18, s12, 0xffff
	s_and_b32 s10, s8, 31
	s_cmp_lg_u64 s[10:11], 0
	s_cselect_b64 s[10:11], -1, 0
	s_and_b32 s12, s3, 7
	s_cmp_lg_u32 s12, 0
	s_cselect_b64 s[12:13], -1, 0
	s_or_b64 s[10:11], s[10:11], s[12:13]
	s_and_b64 vcc, exec, s[10:11]
	s_cbranch_vccz .LBB1_14
; %bb.1:
	s_sub_i32 s10, 0, s8
	s_bfe_u32 s10, s10, 0x30002
	s_min_i32 s10, s10, s3
	v_cmp_gt_i32_e32 vcc, s10, v0
	v_mov_b32_e32 v3, 0
	s_and_saveexec_b64 s[12:13], vcc
	s_cbranch_execz .LBB1_5
; %bb.2:
	s_add_u32 s16, s4, s6
	v_lshlrev_b32_e32 v2, 2, v0
	v_mov_b32_e32 v3, 0
	s_addc_u32 s17, s5, s7
	s_mov_b32 s15, 0
	v_lshl_add_u64 v[4:5], s[16:17], 0, v[2:3]
	s_lshl_b32 s14, s18, 2
	s_mov_b64 s[16:17], 0
	v_mov_b32_e32 v1, v0
.LBB1_3:                                ; =>This Inner Loop Header: Depth=1
	global_load_dword v2, v[4:5], off
	v_add_u32_e32 v1, s18, v1
	v_cmp_le_i32_e32 vcc, s10, v1
	v_lshl_add_u64 v[4:5], v[4:5], 0, s[14:15]
	s_or_b64 s[16:17], vcc, s[16:17]
	s_waitcnt vmcnt(0)
	v_fmac_f32_e32 v3, v2, v2
	s_andn2_b64 exec, exec, s[16:17]
	s_cbranch_execnz .LBB1_3
; %bb.4:
	s_or_b64 exec, exec, s[16:17]
.LBB1_5:
	s_or_b64 exec, exec, s[12:13]
	s_sub_i32 s19, s3, s10
	s_ashr_i32 s12, s19, 31
	s_lshr_b32 s12, s12, 29
	s_add_i32 s12, s19, s12
	s_ashr_i32 s20, s12, 3
	s_ashr_i32 s11, s10, 31
	v_cmp_gt_i32_e32 vcc, s20, v0
	s_and_saveexec_b64 s[12:13], vcc
	s_cbranch_execz .LBB1_9
; %bb.6:
	s_lshl_b64 s[16:17], s[10:11], 2
	s_add_u32 s14, s4, s6
	s_addc_u32 s21, s5, s7
	s_add_u32 s16, s14, s16
	v_lshlrev_b32_e32 v4, 5, v0
	v_mov_b32_e32 v5, 0
	s_addc_u32 s17, s21, s17
	s_mov_b32 s15, 0
	v_lshl_add_u64 v[4:5], s[16:17], 0, v[4:5]
	s_lshl_b32 s14, s18, 5
	s_mov_b64 s[16:17], 0
	v_mov_b32_e32 v1, v0
.LBB1_7:                                ; =>This Inner Loop Header: Depth=1
	global_load_dwordx4 v[6:9], v[4:5], off
	global_load_dwordx4 v[10:13], v[4:5], off offset:16
	v_add_u32_e32 v1, s18, v1
	v_cmp_le_i32_e32 vcc, s20, v1
	v_lshl_add_u64 v[4:5], v[4:5], 0, s[14:15]
	s_or_b64 s[16:17], vcc, s[16:17]
	s_waitcnt vmcnt(1)
	v_fmac_f32_e32 v3, v6, v6
	v_fmac_f32_e32 v3, v7, v7
	;; [unrolled: 1-line block ×4, first 2 shown]
	s_waitcnt vmcnt(0)
	v_fmac_f32_e32 v3, v10, v10
	v_fmac_f32_e32 v3, v11, v11
	;; [unrolled: 1-line block ×4, first 2 shown]
	s_andn2_b64 exec, exec, s[16:17]
	s_cbranch_execnz .LBB1_7
; %bb.8:
	s_or_b64 exec, exec, s[16:17]
.LBB1_9:
	s_or_b64 exec, exec, s[12:13]
	v_lshl_add_u32 v4, s20, 3, v0
	v_cmp_gt_i32_e32 vcc, s19, v4
	s_and_saveexec_b64 s[12:13], vcc
	s_cbranch_execz .LBB1_13
; %bb.10:
	s_lshl_b64 s[10:11], s[10:11], 2
	s_add_u32 s14, s4, s6
	s_addc_u32 s15, s5, s7
	s_add_u32 s10, s14, s10
	v_ashrrev_i32_e32 v5, 31, v4
	s_addc_u32 s11, s15, s11
	v_lshl_add_u64 v[6:7], v[4:5], 2, s[10:11]
	s_lshl_b32 s10, s18, 2
	s_mov_b32 s11, 0
	s_mov_b64 s[14:15], 0
.LBB1_11:                               ; =>This Inner Loop Header: Depth=1
	global_load_dword v1, v[6:7], off
	v_add_u32_e32 v4, s18, v4
	v_cmp_le_i32_e32 vcc, s19, v4
	v_lshl_add_u64 v[6:7], v[6:7], 0, s[10:11]
	s_or_b64 s[14:15], vcc, s[14:15]
	s_waitcnt vmcnt(0)
	v_fmac_f32_e32 v3, v1, v1
	s_andn2_b64 exec, exec, s[14:15]
	s_cbranch_execnz .LBB1_11
; %bb.12:
	s_or_b64 exec, exec, s[14:15]
.LBB1_13:
	s_or_b64 exec, exec, s[12:13]
	s_branch .LBB1_20
.LBB1_14:
                                        ; implicit-def: $vgpr3
	s_cbranch_execz .LBB1_20
; %bb.15:
	s_ashr_i32 s14, s3, 3
	v_cmp_gt_i32_e32 vcc, s14, v0
	v_mov_b32_e32 v3, 0
	s_and_saveexec_b64 s[10:11], vcc
	s_cbranch_execz .LBB1_19
; %bb.16:
	s_add_u32 s4, s4, s6
	v_lshlrev_b32_e32 v2, 5, v0
	v_mov_b32_e32 v3, 0
	s_addc_u32 s5, s5, s7
	s_mov_b32 s13, 0
	v_lshl_add_u64 v[4:5], s[4:5], 0, v[2:3]
	s_lshl_b32 s12, s18, 5
	s_mov_b64 s[4:5], 0
	v_mov_b32_e32 v1, v0
.LBB1_17:                               ; =>This Inner Loop Header: Depth=1
	global_load_dwordx4 v[6:9], v[4:5], off
	global_load_dwordx4 v[10:13], v[4:5], off offset:16
	v_add_u32_e32 v1, s18, v1
	v_cmp_le_i32_e32 vcc, s14, v1
	v_lshl_add_u64 v[4:5], v[4:5], 0, s[12:13]
	s_or_b64 s[4:5], vcc, s[4:5]
	s_waitcnt vmcnt(1)
	v_fmac_f32_e32 v3, v6, v6
	v_fmac_f32_e32 v3, v7, v7
	;; [unrolled: 1-line block ×4, first 2 shown]
	s_waitcnt vmcnt(0)
	v_fmac_f32_e32 v3, v10, v10
	v_fmac_f32_e32 v3, v11, v11
	;; [unrolled: 1-line block ×4, first 2 shown]
	s_andn2_b64 exec, exec, s[4:5]
	s_cbranch_execnz .LBB1_17
; %bb.18:
	s_or_b64 exec, exec, s[4:5]
.LBB1_19:
	s_or_b64 exec, exec, s[10:11]
.LBB1_20:
	v_mbcnt_lo_u32_b32 v1, -1, 0
	v_mbcnt_hi_u32_b32 v1, -1, v1
	v_and_b32_e32 v2, 63, v1
	v_cmp_ne_u32_e32 vcc, 63, v2
	v_and_b32_e32 v5, 0x3c0, v0
	v_sub_u32_e64 v5, s18, v5 clamp
	v_addc_co_u32_e32 v4, vcc, 0, v1, vcc
	v_lshlrev_b32_e32 v4, 2, v4
	ds_bpermute_b32 v4, v4, v3
	v_add_u32_e32 v6, 1, v1
	v_cmp_lt_u32_e32 vcc, v6, v5
	v_add_u32_e32 v6, 2, v1
	s_waitcnt lgkmcnt(0)
	v_add_f32_e32 v4, v3, v4
	v_cndmask_b32_e32 v3, v3, v4, vcc
	v_cmp_gt_u32_e32 vcc, 62, v2
	s_nop 1
	v_cndmask_b32_e64 v4, 0, 1, vcc
	v_lshlrev_b32_e32 v4, 1, v4
	v_add_lshl_u32 v4, v4, v1, 2
	ds_bpermute_b32 v4, v4, v3
	v_cmp_lt_u32_e32 vcc, v6, v5
	v_add_u32_e32 v6, 4, v1
	s_waitcnt lgkmcnt(0)
	v_add_f32_e32 v4, v3, v4
	v_cndmask_b32_e32 v3, v3, v4, vcc
	v_cmp_gt_u32_e32 vcc, 60, v2
	s_nop 1
	v_cndmask_b32_e64 v4, 0, 1, vcc
	v_lshlrev_b32_e32 v4, 2, v4
	v_add_lshl_u32 v4, v4, v1, 2
	ds_bpermute_b32 v4, v4, v3
	;; [unrolled: 11-line block ×4, first 2 shown]
	v_cmp_lt_u32_e32 vcc, v6, v5
	s_waitcnt lgkmcnt(0)
	v_add_f32_e32 v4, v3, v4
	v_cndmask_b32_e32 v3, v3, v4, vcc
	v_cmp_gt_u32_e32 vcc, 32, v2
	v_add_u32_e32 v4, 32, v1
	s_nop 0
	v_cndmask_b32_e64 v2, 0, 1, vcc
	v_lshlrev_b32_e32 v2, 5, v2
	v_add_lshl_u32 v2, v2, v1, 2
	ds_bpermute_b32 v2, v2, v3
	v_cmp_lt_u32_e32 vcc, v4, v5
	s_waitcnt lgkmcnt(0)
	v_add_f32_e32 v2, v3, v2
	v_cndmask_b32_e32 v2, v3, v2, vcc
	v_cmp_eq_u32_e32 vcc, 0, v1
	s_and_saveexec_b64 s[4:5], vcc
	s_cbranch_execz .LBB1_22
; %bb.21:
	v_lshrrev_b32_e32 v3, 4, v0
	v_and_b32_e32 v3, 60, v3
	ds_write_b32 v3, v2
.LBB1_22:
	s_or_b64 exec, exec, s[4:5]
	v_cmp_gt_u32_e32 vcc, 16, v0
	s_waitcnt lgkmcnt(0)
	s_barrier
	s_and_saveexec_b64 s[6:7], vcc
	s_cbranch_execz .LBB1_24
; %bb.23:
	v_lshlrev_b32_e32 v2, 2, v1
	ds_read_b32 v2, v2
	v_and_b32_e32 v3, 15, v1
	v_cmp_ne_u32_e32 vcc, 15, v3
	s_add_i32 s4, s18, 63
	s_lshr_b32 s10, s4, 6
	v_addc_co_u32_e32 v4, vcc, 0, v1, vcc
	v_lshlrev_b32_e32 v4, 2, v4
	s_waitcnt lgkmcnt(0)
	ds_bpermute_b32 v4, v4, v2
	v_add_u32_e32 v5, 1, v3
	v_cmp_gt_u32_e64 s[4:5], 14, v3
	v_cmp_gt_u32_e32 vcc, s10, v5
	v_add_u32_e32 v6, 2, v3
	v_cndmask_b32_e64 v5, 0, 1, s[4:5]
	s_waitcnt lgkmcnt(0)
	v_add_f32_e32 v4, v2, v4
	v_lshlrev_b32_e32 v5, 1, v5
	v_cndmask_b32_e32 v4, v2, v4, vcc
	v_add_lshl_u32 v5, v5, v1, 2
	ds_bpermute_b32 v5, v5, v4
	v_cmp_gt_u32_e64 s[4:5], s10, v6
	v_add_u32_e32 v6, 4, v3
	s_waitcnt lgkmcnt(0)
	v_add_f32_e32 v5, v4, v5
	v_cndmask_b32_e64 v4, v4, v5, s[4:5]
	v_cmp_gt_u32_e64 s[4:5], 12, v3
	s_nop 1
	v_cndmask_b32_e64 v5, 0, 1, s[4:5]
	v_lshlrev_b32_e32 v5, 2, v5
	v_add_lshl_u32 v5, v5, v1, 2
	ds_bpermute_b32 v5, v5, v4
	v_cmp_gt_u32_e64 s[4:5], s10, v6
	s_waitcnt lgkmcnt(0)
	v_add_f32_e32 v5, v4, v5
	v_cndmask_b32_e64 v4, v4, v5, s[4:5]
	v_cmp_gt_u32_e64 s[4:5], 8, v3
	v_add_u32_e32 v3, 8, v3
	s_nop 0
	v_cndmask_b32_e64 v5, 0, 1, s[4:5]
	v_lshlrev_b32_e32 v5, 3, v5
	v_add_lshl_u32 v1, v5, v1, 2
	ds_bpermute_b32 v1, v1, v4
	v_cmp_gt_u32_e64 s[4:5], s10, v3
	s_waitcnt lgkmcnt(0)
	v_add_f32_e32 v1, v4, v1
	v_cndmask_b32_e64 v1, v4, v1, s[4:5]
	v_cndmask_b32_e32 v2, v2, v1, vcc
.LBB1_24:
	s_or_b64 exec, exec, s[6:7]
	v_cmp_eq_u32_e32 vcc, 0, v0
	s_and_saveexec_b64 s[4:5], vcc
	s_cbranch_execz .LBB1_26
; %bb.25:
	v_cvt_f32_i32_e32 v1, s3
	s_load_dword s10, s[0:1], 0x28
	v_div_scale_f32 v3, s[6:7], v1, v1, v2
	v_rcp_f32_e32 v4, v3
	v_div_scale_f32 v5, vcc, v2, v1, v2
	s_mov_b32 s6, 0x800000
	v_fma_f32 v6, -v3, v4, 1.0
	v_fmac_f32_e32 v4, v6, v4
	v_mul_f32_e32 v6, v5, v4
	v_fma_f32 v7, -v3, v6, v5
	v_fmac_f32_e32 v6, v7, v4
	v_fma_f32 v3, -v3, v6, v5
	v_div_fmas_f32 v3, v3, v4, v6
	v_div_fixup_f32 v1, v3, v1, v2
	s_waitcnt lgkmcnt(0)
	v_add_f32_e32 v1, s10, v1
	v_mul_f32_e32 v2, 0x4b800000, v1
	v_cmp_gt_f32_e32 vcc, s6, v1
	s_nop 1
	v_cndmask_b32_e32 v1, v1, v2, vcc
	v_rsq_f32_e32 v1, v1
	s_nop 0
	v_mul_f32_e32 v2, 0x45800000, v1
	v_cndmask_b32_e32 v1, v1, v2, vcc
	v_mov_b32_e32 v2, 0
	ds_write_b32 v2, v1 offset:64
.LBB1_26:
	s_or_b64 exec, exec, s[4:5]
	s_ashr_i32 s4, s3, 31
	s_lshr_b32 s4, s4, 29
	s_add_i32 s4, s3, s4
	s_ashr_i32 s12, s4, 3
	v_cmp_gt_i32_e32 vcc, s12, v0
	s_waitcnt lgkmcnt(0)
	s_barrier
	s_and_saveexec_b64 s[4:5], vcc
	s_cbranch_execz .LBB1_77
; %bb.27:
	s_load_dwordx4 s[4:7], s[0:1], 0x18
	s_load_dwordx2 s[10:11], s[0:1], 0x0
	s_mul_i32 s2, s2, s3
	v_mov_b32_e32 v19, 0
	ds_read_b32 v1, v19 offset:64
	s_waitcnt lgkmcnt(0)
	s_load_dword s3, s[6:7], 0x0
	s_lshl_b32 s13, s18, 3
	v_lshlrev_b32_e32 v18, 5, v0
	v_lshl_add_u32 v20, v0, 3, s2
	s_lshl_b32 s14, s18, 5
	s_waitcnt lgkmcnt(0)
	v_div_scale_f32 v2, s[0:1], s3, s3, 1.0
	v_rcp_f32_e32 v3, v2
	v_div_scale_f32 v4, vcc, 1.0, s3, 1.0
	s_mov_b64 s[0:1], 0
	v_fma_f32 v5, -v2, v3, 1.0
	v_fmac_f32_e32 v3, v5, v3
	v_mul_f32_e32 v5, v4, v3
	v_fma_f32 v6, -v2, v5, v4
	v_fmac_f32_e32 v5, v6, v3
	v_fma_f32 v2, -v2, v5, v4
	v_div_fmas_f32 v2, v2, v3, v5
	v_div_fixup_f32 v21, v2, s3, 1.0
	s_mov_b32 s15, 0x43f00000
	s_mov_b32 s16, 0x3c7fffff
	;; [unrolled: 1-line block ×4, first 2 shown]
	s_movk_i32 s20, 0x80
	s_branch .LBB1_30
.LBB1_28:                               ;   in Loop: Header=BB1_30 Depth=1
	s_or_b64 exec, exec, s[6:7]
.LBB1_29:                               ;   in Loop: Header=BB1_30 Depth=1
	s_or_b64 exec, exec, s[2:3]
	s_add_u32 s4, s4, s14
	s_addc_u32 s5, s5, 0
	v_add_u32_e32 v0, s18, v0
	s_add_u32 s8, s8, s14
	v_lshrrev_b32_e32 v3, 24, v3
	s_addc_u32 s9, s9, 0
	v_cmp_le_i32_e32 vcc, s12, v0
	v_and_or_b32 v2, v3, s20, v2
	v_add_u32_e32 v3, 7, v20
	s_or_b64 s[0:1], vcc, s[0:1]
	v_add_u32_e32 v20, s13, v20
	global_store_byte v3, v2, s[10:11]
	s_andn2_b64 exec, exec, s[0:1]
	s_cbranch_execz .LBB1_77
.LBB1_30:                               ; =>This Inner Loop Header: Depth=1
	v_lshl_add_u64 v[22:23], s[8:9], 0, v[18:19]
	global_load_dwordx4 v[10:13], v[22:23], off
	v_lshl_add_u64 v[24:25], s[4:5], 0, v[18:19]
	global_load_dwordx4 v[14:17], v[24:25], off
	global_load_dwordx4 v[2:5], v[22:23], off offset:16
	global_load_dwordx4 v[6:9], v[24:25], off offset:16
	v_mov_b32_e32 v22, 0x7f
	s_waitcnt vmcnt(3)
	v_mul_f32_e32 v10, v10, v1
	s_waitcnt vmcnt(2)
	v_mul_f32_e32 v10, v10, v14
	v_mul_f32_e32 v10, v21, v10
	v_min_f32_e32 v10, 0x43e00000, v10
	v_max_f32_e32 v10, 0xc3e00000, v10
	v_and_b32_e32 v23, 0x7fffffff, v10
	v_cmp_gt_u32_e32 vcc, s15, v23
	v_mov_b32_e32 v14, 0x7f
	s_and_saveexec_b64 s[2:3], vcc
	s_cbranch_execz .LBB1_36
; %bb.31:                               ;   in Loop: Header=BB1_30 Depth=1
	v_cmp_lt_u32_e32 vcc, s16, v23
                                        ; implicit-def: $vgpr14
	s_and_saveexec_b64 s[6:7], vcc
	s_xor_b64 s[6:7], exec, s[6:7]
; %bb.32:                               ;   in Loop: Header=BB1_30 Depth=1
	v_bfe_u32 v14, v10, 20, 1
	v_add3_u32 v14, v10, v14, s17
	v_lshrrev_b32_e32 v14, 20, v14
; %bb.33:                               ;   in Loop: Header=BB1_30 Depth=1
	s_andn2_saveexec_b64 s[6:7], s[6:7]
; %bb.34:                               ;   in Loop: Header=BB1_30 Depth=1
	v_add_f32_e64 v14, |v10|, s19
; %bb.35:                               ;   in Loop: Header=BB1_30 Depth=1
	s_or_b64 exec, exec, s[6:7]
.LBB1_36:                               ;   in Loop: Header=BB1_30 Depth=1
	s_or_b64 exec, exec, s[2:3]
	v_lshrrev_b32_e32 v10, 24, v10
	v_and_or_b32 v10, v10, s20, v14
	global_store_byte v20, v10, s[10:11]
	v_mul_f32_e32 v10, v11, v1
	v_mul_f32_e32 v10, v10, v15
	v_mul_f32_e32 v10, v21, v10
	v_min_f32_e32 v10, 0x43e00000, v10
	v_max_f32_e32 v10, 0xc3e00000, v10
	v_and_b32_e32 v11, 0x7fffffff, v10
	v_cmp_gt_u32_e32 vcc, s15, v11
	s_and_saveexec_b64 s[2:3], vcc
	s_cbranch_execz .LBB1_42
; %bb.37:                               ;   in Loop: Header=BB1_30 Depth=1
	v_cmp_lt_u32_e32 vcc, s16, v11
                                        ; implicit-def: $vgpr22
	s_and_saveexec_b64 s[6:7], vcc
	s_xor_b64 s[6:7], exec, s[6:7]
; %bb.38:                               ;   in Loop: Header=BB1_30 Depth=1
	v_bfe_u32 v11, v10, 20, 1
	v_add3_u32 v11, v10, v11, s17
	v_lshrrev_b32_e32 v22, 20, v11
; %bb.39:                               ;   in Loop: Header=BB1_30 Depth=1
	s_andn2_saveexec_b64 s[6:7], s[6:7]
; %bb.40:                               ;   in Loop: Header=BB1_30 Depth=1
	v_add_f32_e64 v22, |v10|, s19
; %bb.41:                               ;   in Loop: Header=BB1_30 Depth=1
	s_or_b64 exec, exec, s[6:7]
.LBB1_42:                               ;   in Loop: Header=BB1_30 Depth=1
	s_or_b64 exec, exec, s[2:3]
	v_lshrrev_b32_e32 v10, 24, v10
	v_and_or_b32 v10, v10, s20, v22
	v_add_u32_e32 v11, 1, v20
	global_store_byte v11, v10, s[10:11]
	v_mul_f32_e32 v10, v12, v1
	v_mul_f32_e32 v10, v10, v16
	;; [unrolled: 1-line block ×3, first 2 shown]
	v_min_f32_e32 v10, 0x43e00000, v10
	v_max_f32_e32 v11, 0xc3e00000, v10
	v_and_b32_e32 v14, 0x7fffffff, v11
	v_cmp_gt_u32_e32 vcc, s15, v14
	v_mov_b32_e32 v10, 0x7f
	v_mov_b32_e32 v12, 0x7f
	s_and_saveexec_b64 s[2:3], vcc
	s_cbranch_execz .LBB1_48
; %bb.43:                               ;   in Loop: Header=BB1_30 Depth=1
	v_cmp_lt_u32_e32 vcc, s16, v14
                                        ; implicit-def: $vgpr12
	s_and_saveexec_b64 s[6:7], vcc
	s_xor_b64 s[6:7], exec, s[6:7]
; %bb.44:                               ;   in Loop: Header=BB1_30 Depth=1
	v_bfe_u32 v12, v11, 20, 1
	v_add3_u32 v12, v11, v12, s17
	v_lshrrev_b32_e32 v12, 20, v12
; %bb.45:                               ;   in Loop: Header=BB1_30 Depth=1
	s_andn2_saveexec_b64 s[6:7], s[6:7]
; %bb.46:                               ;   in Loop: Header=BB1_30 Depth=1
	v_add_f32_e64 v12, |v11|, s19
; %bb.47:                               ;   in Loop: Header=BB1_30 Depth=1
	s_or_b64 exec, exec, s[6:7]
.LBB1_48:                               ;   in Loop: Header=BB1_30 Depth=1
	s_or_b64 exec, exec, s[2:3]
	v_lshrrev_b32_e32 v11, 24, v11
	v_and_or_b32 v11, v11, s20, v12
	v_add_u32_e32 v12, 2, v20
	global_store_byte v12, v11, s[10:11]
	v_mul_f32_e32 v11, v13, v1
	v_mul_f32_e32 v11, v11, v17
	;; [unrolled: 1-line block ×3, first 2 shown]
	v_min_f32_e32 v11, 0x43e00000, v11
	v_max_f32_e32 v11, 0xc3e00000, v11
	v_and_b32_e32 v12, 0x7fffffff, v11
	v_cmp_gt_u32_e32 vcc, s15, v12
	s_and_saveexec_b64 s[2:3], vcc
	s_cbranch_execz .LBB1_54
; %bb.49:                               ;   in Loop: Header=BB1_30 Depth=1
	v_cmp_lt_u32_e32 vcc, s16, v12
                                        ; implicit-def: $vgpr10
	s_and_saveexec_b64 s[6:7], vcc
	s_xor_b64 s[6:7], exec, s[6:7]
; %bb.50:                               ;   in Loop: Header=BB1_30 Depth=1
	v_bfe_u32 v10, v11, 20, 1
	v_add3_u32 v10, v11, v10, s17
	v_lshrrev_b32_e32 v10, 20, v10
; %bb.51:                               ;   in Loop: Header=BB1_30 Depth=1
	s_andn2_saveexec_b64 s[6:7], s[6:7]
; %bb.52:                               ;   in Loop: Header=BB1_30 Depth=1
	v_add_f32_e64 v10, |v11|, s19
; %bb.53:                               ;   in Loop: Header=BB1_30 Depth=1
	s_or_b64 exec, exec, s[6:7]
.LBB1_54:                               ;   in Loop: Header=BB1_30 Depth=1
	s_or_b64 exec, exec, s[2:3]
	s_waitcnt vmcnt(4)
	v_mul_f32_e32 v2, v2, v1
	s_waitcnt vmcnt(3)
	v_mul_f32_e32 v2, v2, v6
	v_mul_f32_e32 v2, v21, v2
	v_lshrrev_b32_e32 v11, 24, v11
	v_min_f32_e32 v2, 0x43e00000, v2
	v_and_or_b32 v10, v11, s20, v10
	v_add_u32_e32 v11, 3, v20
	v_max_f32_e32 v6, 0xc3e00000, v2
	global_store_byte v11, v10, s[10:11]
	v_and_b32_e32 v11, 0x7fffffff, v6
	v_cmp_gt_u32_e32 vcc, s15, v11
	v_mov_b32_e32 v2, 0x7f
	v_mov_b32_e32 v10, 0x7f
	s_and_saveexec_b64 s[2:3], vcc
	s_cbranch_execz .LBB1_60
; %bb.55:                               ;   in Loop: Header=BB1_30 Depth=1
	v_cmp_lt_u32_e32 vcc, s16, v11
                                        ; implicit-def: $vgpr10
	s_and_saveexec_b64 s[6:7], vcc
	s_xor_b64 s[6:7], exec, s[6:7]
; %bb.56:                               ;   in Loop: Header=BB1_30 Depth=1
	v_bfe_u32 v10, v6, 20, 1
	v_add3_u32 v10, v6, v10, s17
	v_lshrrev_b32_e32 v10, 20, v10
; %bb.57:                               ;   in Loop: Header=BB1_30 Depth=1
	s_andn2_saveexec_b64 s[6:7], s[6:7]
; %bb.58:                               ;   in Loop: Header=BB1_30 Depth=1
	v_add_f32_e64 v10, |v6|, s19
; %bb.59:                               ;   in Loop: Header=BB1_30 Depth=1
	s_or_b64 exec, exec, s[6:7]
.LBB1_60:                               ;   in Loop: Header=BB1_30 Depth=1
	s_or_b64 exec, exec, s[2:3]
	v_mul_f32_e32 v3, v3, v1
	v_mul_f32_e32 v3, v3, v7
	;; [unrolled: 1-line block ×3, first 2 shown]
	v_lshrrev_b32_e32 v6, 24, v6
	v_min_f32_e32 v3, 0x43e00000, v3
	v_and_or_b32 v6, v6, s20, v10
	v_add_u32_e32 v10, 4, v20
	v_max_f32_e32 v3, 0xc3e00000, v3
	global_store_byte v10, v6, s[10:11]
	v_and_b32_e32 v6, 0x7fffffff, v3
	v_cmp_gt_u32_e32 vcc, s15, v6
	s_and_saveexec_b64 s[2:3], vcc
	s_cbranch_execz .LBB1_66
; %bb.61:                               ;   in Loop: Header=BB1_30 Depth=1
	v_cmp_lt_u32_e32 vcc, s16, v6
                                        ; implicit-def: $vgpr2
	s_and_saveexec_b64 s[6:7], vcc
	s_xor_b64 s[6:7], exec, s[6:7]
; %bb.62:                               ;   in Loop: Header=BB1_30 Depth=1
	v_bfe_u32 v2, v3, 20, 1
	v_add3_u32 v2, v3, v2, s17
	v_lshrrev_b32_e32 v2, 20, v2
; %bb.63:                               ;   in Loop: Header=BB1_30 Depth=1
	s_andn2_saveexec_b64 s[6:7], s[6:7]
; %bb.64:                               ;   in Loop: Header=BB1_30 Depth=1
	v_add_f32_e64 v2, |v3|, s19
; %bb.65:                               ;   in Loop: Header=BB1_30 Depth=1
	s_or_b64 exec, exec, s[6:7]
.LBB1_66:                               ;   in Loop: Header=BB1_30 Depth=1
	s_or_b64 exec, exec, s[2:3]
	v_lshrrev_b32_e32 v3, 24, v3
	v_and_or_b32 v2, v3, s20, v2
	v_add_u32_e32 v3, 5, v20
	global_store_byte v3, v2, s[10:11]
	v_mul_f32_e32 v2, v4, v1
	v_mul_f32_e32 v2, v2, v8
	;; [unrolled: 1-line block ×3, first 2 shown]
	v_min_f32_e32 v2, 0x43e00000, v2
	v_max_f32_e32 v3, 0xc3e00000, v2
	v_and_b32_e32 v6, 0x7fffffff, v3
	v_cmp_gt_u32_e32 vcc, s15, v6
	v_mov_b32_e32 v2, 0x7f
	v_mov_b32_e32 v4, 0x7f
	s_and_saveexec_b64 s[2:3], vcc
	s_cbranch_execz .LBB1_72
; %bb.67:                               ;   in Loop: Header=BB1_30 Depth=1
	v_cmp_lt_u32_e32 vcc, s16, v6
                                        ; implicit-def: $vgpr4
	s_and_saveexec_b64 s[6:7], vcc
	s_xor_b64 s[6:7], exec, s[6:7]
; %bb.68:                               ;   in Loop: Header=BB1_30 Depth=1
	v_bfe_u32 v4, v3, 20, 1
	v_add3_u32 v4, v3, v4, s17
	v_lshrrev_b32_e32 v4, 20, v4
; %bb.69:                               ;   in Loop: Header=BB1_30 Depth=1
	s_andn2_saveexec_b64 s[6:7], s[6:7]
; %bb.70:                               ;   in Loop: Header=BB1_30 Depth=1
	v_add_f32_e64 v4, |v3|, s19
; %bb.71:                               ;   in Loop: Header=BB1_30 Depth=1
	s_or_b64 exec, exec, s[6:7]
.LBB1_72:                               ;   in Loop: Header=BB1_30 Depth=1
	s_or_b64 exec, exec, s[2:3]
	v_lshrrev_b32_e32 v3, 24, v3
	v_and_or_b32 v3, v3, s20, v4
	v_add_u32_e32 v4, 6, v20
	global_store_byte v4, v3, s[10:11]
	v_mul_f32_e32 v3, v5, v1
	v_mul_f32_e32 v3, v3, v9
	;; [unrolled: 1-line block ×3, first 2 shown]
	v_min_f32_e32 v3, 0x43e00000, v3
	v_max_f32_e32 v3, 0xc3e00000, v3
	v_and_b32_e32 v4, 0x7fffffff, v3
	v_cmp_gt_u32_e32 vcc, s15, v4
	s_and_saveexec_b64 s[2:3], vcc
	s_cbranch_execz .LBB1_29
; %bb.73:                               ;   in Loop: Header=BB1_30 Depth=1
	v_cmp_lt_u32_e32 vcc, s16, v4
                                        ; implicit-def: $vgpr2
	s_and_saveexec_b64 s[6:7], vcc
	s_xor_b64 s[6:7], exec, s[6:7]
; %bb.74:                               ;   in Loop: Header=BB1_30 Depth=1
	v_bfe_u32 v2, v3, 20, 1
	v_add3_u32 v2, v3, v2, s17
	v_lshrrev_b32_e32 v2, 20, v2
; %bb.75:                               ;   in Loop: Header=BB1_30 Depth=1
	s_andn2_saveexec_b64 s[6:7], s[6:7]
	s_cbranch_execz .LBB1_28
; %bb.76:                               ;   in Loop: Header=BB1_30 Depth=1
	v_add_f32_e64 v2, |v3|, s19
	s_branch .LBB1_28
.LBB1_77:
	s_endpgm
	.section	.rodata,"a",@progbits
	.p2align	6, 0x0
	.amdhsa_kernel _ZN4vllm32rms_norm_static_fp8_quant_kernelIfN3c1013Float8_e4m3fnELi8EEEvPT0_PKT_iS7_PKffii
		.amdhsa_group_segment_fixed_size 68
		.amdhsa_private_segment_fixed_size 0
		.amdhsa_kernarg_size 312
		.amdhsa_user_sgpr_count 2
		.amdhsa_user_sgpr_dispatch_ptr 0
		.amdhsa_user_sgpr_queue_ptr 0
		.amdhsa_user_sgpr_kernarg_segment_ptr 1
		.amdhsa_user_sgpr_dispatch_id 0
		.amdhsa_user_sgpr_kernarg_preload_length 0
		.amdhsa_user_sgpr_kernarg_preload_offset 0
		.amdhsa_user_sgpr_private_segment_size 0
		.amdhsa_uses_dynamic_stack 0
		.amdhsa_enable_private_segment 0
		.amdhsa_system_sgpr_workgroup_id_x 1
		.amdhsa_system_sgpr_workgroup_id_y 0
		.amdhsa_system_sgpr_workgroup_id_z 0
		.amdhsa_system_sgpr_workgroup_info 0
		.amdhsa_system_vgpr_workitem_id 0
		.amdhsa_next_free_vgpr 26
		.amdhsa_next_free_sgpr 22
		.amdhsa_accum_offset 28
		.amdhsa_reserve_vcc 1
		.amdhsa_float_round_mode_32 0
		.amdhsa_float_round_mode_16_64 0
		.amdhsa_float_denorm_mode_32 3
		.amdhsa_float_denorm_mode_16_64 3
		.amdhsa_dx10_clamp 1
		.amdhsa_ieee_mode 1
		.amdhsa_fp16_overflow 0
		.amdhsa_tg_split 0
		.amdhsa_exception_fp_ieee_invalid_op 0
		.amdhsa_exception_fp_denorm_src 0
		.amdhsa_exception_fp_ieee_div_zero 0
		.amdhsa_exception_fp_ieee_overflow 0
		.amdhsa_exception_fp_ieee_underflow 0
		.amdhsa_exception_fp_ieee_inexact 0
		.amdhsa_exception_int_div_zero 0
	.end_amdhsa_kernel
	.section	.text._ZN4vllm32rms_norm_static_fp8_quant_kernelIfN3c1013Float8_e4m3fnELi8EEEvPT0_PKT_iS7_PKffii,"axG",@progbits,_ZN4vllm32rms_norm_static_fp8_quant_kernelIfN3c1013Float8_e4m3fnELi8EEEvPT0_PKT_iS7_PKffii,comdat
.Lfunc_end1:
	.size	_ZN4vllm32rms_norm_static_fp8_quant_kernelIfN3c1013Float8_e4m3fnELi8EEEvPT0_PKT_iS7_PKffii, .Lfunc_end1-_ZN4vllm32rms_norm_static_fp8_quant_kernelIfN3c1013Float8_e4m3fnELi8EEEvPT0_PKT_iS7_PKffii
                                        ; -- End function
	.section	.AMDGPU.csdata,"",@progbits
; Kernel info:
; codeLenInByte = 2920
; NumSgprs: 28
; NumVgprs: 26
; NumAgprs: 0
; TotalNumVgprs: 26
; ScratchSize: 0
; MemoryBound: 1
; FloatMode: 240
; IeeeMode: 1
; LDSByteSize: 68 bytes/workgroup (compile time only)
; SGPRBlocks: 3
; VGPRBlocks: 3
; NumSGPRsForWavesPerEU: 28
; NumVGPRsForWavesPerEU: 26
; AccumOffset: 28
; Occupancy: 8
; WaveLimiterHint : 0
; COMPUTE_PGM_RSRC2:SCRATCH_EN: 0
; COMPUTE_PGM_RSRC2:USER_SGPR: 2
; COMPUTE_PGM_RSRC2:TRAP_HANDLER: 0
; COMPUTE_PGM_RSRC2:TGID_X_EN: 1
; COMPUTE_PGM_RSRC2:TGID_Y_EN: 0
; COMPUTE_PGM_RSRC2:TGID_Z_EN: 0
; COMPUTE_PGM_RSRC2:TIDIG_COMP_CNT: 0
; COMPUTE_PGM_RSRC3_GFX90A:ACCUM_OFFSET: 6
; COMPUTE_PGM_RSRC3_GFX90A:TG_SPLIT: 0
	.section	.text._ZN4vllm32rms_norm_static_fp8_quant_kernelIfN3c1013Float8_e4m3fnELi4EEEvPT0_PKT_iS7_PKffii,"axG",@progbits,_ZN4vllm32rms_norm_static_fp8_quant_kernelIfN3c1013Float8_e4m3fnELi4EEEvPT0_PKT_iS7_PKffii,comdat
	.protected	_ZN4vllm32rms_norm_static_fp8_quant_kernelIfN3c1013Float8_e4m3fnELi4EEEvPT0_PKT_iS7_PKffii ; -- Begin function _ZN4vllm32rms_norm_static_fp8_quant_kernelIfN3c1013Float8_e4m3fnELi4EEEvPT0_PKT_iS7_PKffii
	.globl	_ZN4vllm32rms_norm_static_fp8_quant_kernelIfN3c1013Float8_e4m3fnELi4EEEvPT0_PKT_iS7_PKffii
	.p2align	8
	.type	_ZN4vllm32rms_norm_static_fp8_quant_kernelIfN3c1013Float8_e4m3fnELi4EEEvPT0_PKT_iS7_PKffii,@function
_ZN4vllm32rms_norm_static_fp8_quant_kernelIfN3c1013Float8_e4m3fnELi4EEEvPT0_PKT_iS7_PKffii: ; @_ZN4vllm32rms_norm_static_fp8_quant_kernelIfN3c1013Float8_e4m3fnELi4EEEvPT0_PKT_iS7_PKffii
; %bb.0:
	s_load_dword s6, s[0:1], 0x10
	s_load_dwordx2 s[4:5], s[0:1], 0x8
	s_load_dword s3, s[0:1], 0x30
	s_load_dword s12, s[0:1], 0x44
	s_mov_b32 s11, 0
	s_waitcnt lgkmcnt(0)
	s_mul_i32 s10, s2, s6
	s_lshl_b64 s[6:7], s[10:11], 2
	s_add_u32 s8, s4, s6
	s_addc_u32 s9, s5, s7
	s_and_b32 s18, s12, 0xffff
	s_and_b32 s10, s8, 15
	s_cmp_lg_u64 s[10:11], 0
	s_cselect_b64 s[10:11], -1, 0
	s_and_b32 s12, s3, 3
	s_cmp_lg_u32 s12, 0
	s_cselect_b64 s[12:13], -1, 0
	s_or_b64 s[10:11], s[10:11], s[12:13]
	s_and_b64 vcc, exec, s[10:11]
	s_cbranch_vccz .LBB2_14
; %bb.1:
	s_sub_i32 s10, 0, s8
	s_bfe_u32 s10, s10, 0x20002
	s_min_i32 s10, s10, s3
	v_cmp_gt_i32_e32 vcc, s10, v0
	v_mov_b32_e32 v3, 0
	s_and_saveexec_b64 s[12:13], vcc
	s_cbranch_execz .LBB2_5
; %bb.2:
	s_add_u32 s16, s4, s6
	v_lshlrev_b32_e32 v2, 2, v0
	v_mov_b32_e32 v3, 0
	s_addc_u32 s17, s5, s7
	s_mov_b32 s15, 0
	v_lshl_add_u64 v[4:5], s[16:17], 0, v[2:3]
	s_lshl_b32 s14, s18, 2
	s_mov_b64 s[16:17], 0
	v_mov_b32_e32 v1, v0
.LBB2_3:                                ; =>This Inner Loop Header: Depth=1
	global_load_dword v2, v[4:5], off
	v_add_u32_e32 v1, s18, v1
	v_cmp_le_i32_e32 vcc, s10, v1
	v_lshl_add_u64 v[4:5], v[4:5], 0, s[14:15]
	s_or_b64 s[16:17], vcc, s[16:17]
	s_waitcnt vmcnt(0)
	v_fmac_f32_e32 v3, v2, v2
	s_andn2_b64 exec, exec, s[16:17]
	s_cbranch_execnz .LBB2_3
; %bb.4:
	s_or_b64 exec, exec, s[16:17]
.LBB2_5:
	s_or_b64 exec, exec, s[12:13]
	s_sub_i32 s19, s3, s10
	s_ashr_i32 s12, s19, 31
	s_lshr_b32 s12, s12, 30
	s_add_i32 s12, s19, s12
	s_ashr_i32 s20, s12, 2
	s_ashr_i32 s11, s10, 31
	v_cmp_gt_i32_e32 vcc, s20, v0
	s_and_saveexec_b64 s[12:13], vcc
	s_cbranch_execz .LBB2_9
; %bb.6:
	s_lshl_b64 s[16:17], s[10:11], 2
	s_add_u32 s14, s4, s6
	s_addc_u32 s21, s5, s7
	s_add_u32 s16, s14, s16
	v_lshlrev_b32_e32 v4, 4, v0
	v_mov_b32_e32 v5, 0
	s_addc_u32 s17, s21, s17
	v_lshl_add_u64 v[4:5], s[16:17], 0, v[4:5]
	s_mov_b32 s15, 0
	v_lshl_add_u64 v[4:5], v[4:5], 0, 8
	s_lshl_b32 s14, s18, 4
	s_mov_b64 s[16:17], 0
	v_mov_b32_e32 v1, v0
.LBB2_7:                                ; =>This Inner Loop Header: Depth=1
	global_load_dwordx4 v[6:9], v[4:5], off offset:-8
	v_add_u32_e32 v1, s18, v1
	v_cmp_le_i32_e32 vcc, s20, v1
	v_lshl_add_u64 v[4:5], v[4:5], 0, s[14:15]
	s_or_b64 s[16:17], vcc, s[16:17]
	s_waitcnt vmcnt(0)
	v_fmac_f32_e32 v3, v6, v6
	v_fmac_f32_e32 v3, v7, v7
	;; [unrolled: 1-line block ×4, first 2 shown]
	s_andn2_b64 exec, exec, s[16:17]
	s_cbranch_execnz .LBB2_7
; %bb.8:
	s_or_b64 exec, exec, s[16:17]
.LBB2_9:
	s_or_b64 exec, exec, s[12:13]
	v_lshl_add_u32 v4, s20, 2, v0
	v_cmp_gt_i32_e32 vcc, s19, v4
	s_and_saveexec_b64 s[12:13], vcc
	s_cbranch_execz .LBB2_13
; %bb.10:
	s_lshl_b64 s[10:11], s[10:11], 2
	s_add_u32 s14, s4, s6
	s_addc_u32 s15, s5, s7
	s_add_u32 s10, s14, s10
	v_ashrrev_i32_e32 v5, 31, v4
	s_addc_u32 s11, s15, s11
	v_lshl_add_u64 v[6:7], v[4:5], 2, s[10:11]
	s_lshl_b32 s10, s18, 2
	s_mov_b32 s11, 0
	s_mov_b64 s[14:15], 0
.LBB2_11:                               ; =>This Inner Loop Header: Depth=1
	global_load_dword v1, v[6:7], off
	v_add_u32_e32 v4, s18, v4
	v_cmp_le_i32_e32 vcc, s19, v4
	v_lshl_add_u64 v[6:7], v[6:7], 0, s[10:11]
	s_or_b64 s[14:15], vcc, s[14:15]
	s_waitcnt vmcnt(0)
	v_fmac_f32_e32 v3, v1, v1
	s_andn2_b64 exec, exec, s[14:15]
	s_cbranch_execnz .LBB2_11
; %bb.12:
	s_or_b64 exec, exec, s[14:15]
.LBB2_13:
	s_or_b64 exec, exec, s[12:13]
	s_branch .LBB2_20
.LBB2_14:
                                        ; implicit-def: $vgpr3
	s_cbranch_execz .LBB2_20
; %bb.15:
	s_ashr_i32 s14, s3, 2
	v_cmp_gt_i32_e32 vcc, s14, v0
	v_mov_b32_e32 v3, 0
	s_and_saveexec_b64 s[10:11], vcc
	s_cbranch_execz .LBB2_19
; %bb.16:
	s_add_u32 s4, s4, s6
	v_lshlrev_b32_e32 v2, 4, v0
	v_mov_b32_e32 v3, 0
	s_addc_u32 s5, s5, s7
	v_lshl_add_u64 v[4:5], s[4:5], 0, v[2:3]
	s_mov_b32 s13, 0
	v_lshl_add_u64 v[4:5], v[4:5], 0, 8
	s_lshl_b32 s12, s18, 4
	s_mov_b64 s[4:5], 0
	v_mov_b32_e32 v1, v0
.LBB2_17:                               ; =>This Inner Loop Header: Depth=1
	global_load_dwordx4 v[6:9], v[4:5], off offset:-8
	v_add_u32_e32 v1, s18, v1
	v_cmp_le_i32_e32 vcc, s14, v1
	v_lshl_add_u64 v[4:5], v[4:5], 0, s[12:13]
	s_or_b64 s[4:5], vcc, s[4:5]
	s_waitcnt vmcnt(0)
	v_fmac_f32_e32 v3, v6, v6
	v_fmac_f32_e32 v3, v7, v7
	v_fmac_f32_e32 v3, v8, v8
	v_fmac_f32_e32 v3, v9, v9
	s_andn2_b64 exec, exec, s[4:5]
	s_cbranch_execnz .LBB2_17
; %bb.18:
	s_or_b64 exec, exec, s[4:5]
.LBB2_19:
	s_or_b64 exec, exec, s[10:11]
.LBB2_20:
	v_mbcnt_lo_u32_b32 v1, -1, 0
	v_mbcnt_hi_u32_b32 v1, -1, v1
	v_and_b32_e32 v2, 63, v1
	v_cmp_ne_u32_e32 vcc, 63, v2
	v_and_b32_e32 v5, 0x3c0, v0
	v_sub_u32_e64 v5, s18, v5 clamp
	v_addc_co_u32_e32 v4, vcc, 0, v1, vcc
	v_lshlrev_b32_e32 v4, 2, v4
	ds_bpermute_b32 v4, v4, v3
	v_add_u32_e32 v6, 1, v1
	v_cmp_lt_u32_e32 vcc, v6, v5
	v_add_u32_e32 v6, 2, v1
	s_waitcnt lgkmcnt(0)
	v_add_f32_e32 v4, v3, v4
	v_cndmask_b32_e32 v3, v3, v4, vcc
	v_cmp_gt_u32_e32 vcc, 62, v2
	s_nop 1
	v_cndmask_b32_e64 v4, 0, 1, vcc
	v_lshlrev_b32_e32 v4, 1, v4
	v_add_lshl_u32 v4, v4, v1, 2
	ds_bpermute_b32 v4, v4, v3
	v_cmp_lt_u32_e32 vcc, v6, v5
	v_add_u32_e32 v6, 4, v1
	s_waitcnt lgkmcnt(0)
	v_add_f32_e32 v4, v3, v4
	v_cndmask_b32_e32 v3, v3, v4, vcc
	v_cmp_gt_u32_e32 vcc, 60, v2
	s_nop 1
	v_cndmask_b32_e64 v4, 0, 1, vcc
	v_lshlrev_b32_e32 v4, 2, v4
	v_add_lshl_u32 v4, v4, v1, 2
	ds_bpermute_b32 v4, v4, v3
	;; [unrolled: 11-line block ×4, first 2 shown]
	v_cmp_lt_u32_e32 vcc, v6, v5
	s_waitcnt lgkmcnt(0)
	v_add_f32_e32 v4, v3, v4
	v_cndmask_b32_e32 v3, v3, v4, vcc
	v_cmp_gt_u32_e32 vcc, 32, v2
	v_add_u32_e32 v4, 32, v1
	s_nop 0
	v_cndmask_b32_e64 v2, 0, 1, vcc
	v_lshlrev_b32_e32 v2, 5, v2
	v_add_lshl_u32 v2, v2, v1, 2
	ds_bpermute_b32 v2, v2, v3
	v_cmp_lt_u32_e32 vcc, v4, v5
	s_waitcnt lgkmcnt(0)
	v_add_f32_e32 v2, v3, v2
	v_cndmask_b32_e32 v2, v3, v2, vcc
	v_cmp_eq_u32_e32 vcc, 0, v1
	s_and_saveexec_b64 s[4:5], vcc
	s_cbranch_execz .LBB2_22
; %bb.21:
	v_lshrrev_b32_e32 v3, 4, v0
	v_and_b32_e32 v3, 60, v3
	ds_write_b32 v3, v2
.LBB2_22:
	s_or_b64 exec, exec, s[4:5]
	v_cmp_gt_u32_e32 vcc, 16, v0
	s_waitcnt lgkmcnt(0)
	s_barrier
	s_and_saveexec_b64 s[6:7], vcc
	s_cbranch_execz .LBB2_24
; %bb.23:
	v_lshlrev_b32_e32 v2, 2, v1
	ds_read_b32 v2, v2
	v_and_b32_e32 v3, 15, v1
	v_cmp_ne_u32_e32 vcc, 15, v3
	s_add_i32 s4, s18, 63
	s_lshr_b32 s10, s4, 6
	v_addc_co_u32_e32 v4, vcc, 0, v1, vcc
	v_lshlrev_b32_e32 v4, 2, v4
	s_waitcnt lgkmcnt(0)
	ds_bpermute_b32 v4, v4, v2
	v_add_u32_e32 v5, 1, v3
	v_cmp_gt_u32_e64 s[4:5], 14, v3
	v_cmp_gt_u32_e32 vcc, s10, v5
	v_add_u32_e32 v6, 2, v3
	v_cndmask_b32_e64 v5, 0, 1, s[4:5]
	s_waitcnt lgkmcnt(0)
	v_add_f32_e32 v4, v2, v4
	v_lshlrev_b32_e32 v5, 1, v5
	v_cndmask_b32_e32 v4, v2, v4, vcc
	v_add_lshl_u32 v5, v5, v1, 2
	ds_bpermute_b32 v5, v5, v4
	v_cmp_gt_u32_e64 s[4:5], s10, v6
	v_add_u32_e32 v6, 4, v3
	s_waitcnt lgkmcnt(0)
	v_add_f32_e32 v5, v4, v5
	v_cndmask_b32_e64 v4, v4, v5, s[4:5]
	v_cmp_gt_u32_e64 s[4:5], 12, v3
	s_nop 1
	v_cndmask_b32_e64 v5, 0, 1, s[4:5]
	v_lshlrev_b32_e32 v5, 2, v5
	v_add_lshl_u32 v5, v5, v1, 2
	ds_bpermute_b32 v5, v5, v4
	v_cmp_gt_u32_e64 s[4:5], s10, v6
	s_waitcnt lgkmcnt(0)
	v_add_f32_e32 v5, v4, v5
	v_cndmask_b32_e64 v4, v4, v5, s[4:5]
	v_cmp_gt_u32_e64 s[4:5], 8, v3
	v_add_u32_e32 v3, 8, v3
	s_nop 0
	v_cndmask_b32_e64 v5, 0, 1, s[4:5]
	v_lshlrev_b32_e32 v5, 3, v5
	v_add_lshl_u32 v1, v5, v1, 2
	ds_bpermute_b32 v1, v1, v4
	v_cmp_gt_u32_e64 s[4:5], s10, v3
	s_waitcnt lgkmcnt(0)
	v_add_f32_e32 v1, v4, v1
	v_cndmask_b32_e64 v1, v4, v1, s[4:5]
	v_cndmask_b32_e32 v2, v2, v1, vcc
.LBB2_24:
	s_or_b64 exec, exec, s[6:7]
	v_cmp_eq_u32_e32 vcc, 0, v0
	s_and_saveexec_b64 s[4:5], vcc
	s_cbranch_execz .LBB2_26
; %bb.25:
	v_cvt_f32_i32_e32 v1, s3
	s_load_dword s10, s[0:1], 0x28
	v_div_scale_f32 v3, s[6:7], v1, v1, v2
	v_rcp_f32_e32 v4, v3
	v_div_scale_f32 v5, vcc, v2, v1, v2
	s_mov_b32 s6, 0x800000
	v_fma_f32 v6, -v3, v4, 1.0
	v_fmac_f32_e32 v4, v6, v4
	v_mul_f32_e32 v6, v5, v4
	v_fma_f32 v7, -v3, v6, v5
	v_fmac_f32_e32 v6, v7, v4
	v_fma_f32 v3, -v3, v6, v5
	v_div_fmas_f32 v3, v3, v4, v6
	v_div_fixup_f32 v1, v3, v1, v2
	s_waitcnt lgkmcnt(0)
	v_add_f32_e32 v1, s10, v1
	v_mul_f32_e32 v2, 0x4b800000, v1
	v_cmp_gt_f32_e32 vcc, s6, v1
	s_nop 1
	v_cndmask_b32_e32 v1, v1, v2, vcc
	v_rsq_f32_e32 v1, v1
	s_nop 0
	v_mul_f32_e32 v2, 0x45800000, v1
	v_cndmask_b32_e32 v1, v1, v2, vcc
	v_mov_b32_e32 v2, 0
	ds_write_b32 v2, v1 offset:64
.LBB2_26:
	s_or_b64 exec, exec, s[4:5]
	s_ashr_i32 s4, s3, 31
	s_lshr_b32 s4, s4, 30
	s_add_i32 s4, s3, s4
	s_ashr_i32 s14, s4, 2
	v_cmp_gt_i32_e32 vcc, s14, v0
	s_waitcnt lgkmcnt(0)
	s_barrier
	s_and_saveexec_b64 s[4:5], vcc
	s_cbranch_execz .LBB2_53
; %bb.27:
	s_load_dwordx4 s[4:7], s[0:1], 0x18
	s_load_dwordx2 s[10:11], s[0:1], 0x0
	s_mul_i32 s2, s2, s3
	v_mov_b32_e32 v11, 0
	ds_read_b32 v1, v11 offset:64
	s_waitcnt lgkmcnt(0)
	s_load_dword s3, s[6:7], 0x0
	s_lshl_b32 s15, s18, 2
	v_lshlrev_b32_e32 v10, 4, v0
	v_lshl_add_u32 v12, v0, 2, s2
	s_mov_b32 s16, 0x43f00000
	s_waitcnt lgkmcnt(0)
	v_div_scale_f32 v2, s[0:1], s3, s3, 1.0
	v_rcp_f32_e32 v3, v2
	v_div_scale_f32 v4, vcc, 1.0, s3, 1.0
	s_mov_b32 s1, 0
	v_fma_f32 v5, -v2, v3, 1.0
	v_fmac_f32_e32 v3, v5, v3
	v_mul_f32_e32 v5, v4, v3
	v_fma_f32 v6, -v2, v5, v4
	v_fmac_f32_e32 v5, v6, v3
	v_fma_f32 v2, -v2, v5, v4
	v_div_fmas_f32 v2, v2, v3, v5
	v_div_fixup_f32 v13, v2, s3, 1.0
	s_lshl_b32 s0, s18, 4
	s_mov_b64 s[2:3], 0
	s_mov_b32 s17, 0x3c7fffff
	s_mov_b32 s19, 0x407ffff
	s_mov_b32 s20, 0x46800000
	s_movk_i32 s21, 0x80
	s_branch .LBB2_30
.LBB2_28:                               ;   in Loop: Header=BB2_30 Depth=1
	s_or_b64 exec, exec, s[12:13]
.LBB2_29:                               ;   in Loop: Header=BB2_30 Depth=1
	s_or_b64 exec, exec, s[6:7]
	v_add_u32_e32 v0, s18, v0
	v_lshrrev_b32_e32 v3, 24, v3
	v_cmp_le_i32_e32 vcc, s14, v0
	v_and_or_b32 v2, v3, s21, v2
	v_add_u32_e32 v3, 3, v12
	v_add_u32_e32 v12, s15, v12
	s_or_b64 s[2:3], vcc, s[2:3]
	v_lshl_add_u64 v[10:11], v[10:11], 0, s[0:1]
	global_store_byte v3, v2, s[10:11]
	s_andn2_b64 exec, exec, s[2:3]
	s_cbranch_execz .LBB2_53
.LBB2_30:                               ; =>This Inner Loop Header: Depth=1
	v_lshl_add_u64 v[2:3], s[8:9], 0, v[10:11]
	global_load_dwordx4 v[2:5], v[2:3], off
	v_lshl_add_u64 v[6:7], s[4:5], 0, v[10:11]
	global_load_dwordx4 v[6:9], v[6:7], off
	v_mov_b32_e32 v14, 0x7f
	s_waitcnt vmcnt(1)
	v_mul_f32_e32 v2, v2, v1
	s_waitcnt vmcnt(0)
	v_mul_f32_e32 v2, v2, v6
	v_mul_f32_e32 v2, v13, v2
	v_min_f32_e32 v2, 0x43e00000, v2
	v_max_f32_e32 v2, 0xc3e00000, v2
	v_and_b32_e32 v15, 0x7fffffff, v2
	v_cmp_gt_u32_e32 vcc, s16, v15
	v_mov_b32_e32 v6, 0x7f
	s_and_saveexec_b64 s[6:7], vcc
	s_cbranch_execz .LBB2_36
; %bb.31:                               ;   in Loop: Header=BB2_30 Depth=1
	v_cmp_lt_u32_e32 vcc, s17, v15
                                        ; implicit-def: $vgpr6
	s_and_saveexec_b64 s[12:13], vcc
	s_xor_b64 s[12:13], exec, s[12:13]
; %bb.32:                               ;   in Loop: Header=BB2_30 Depth=1
	v_bfe_u32 v6, v2, 20, 1
	v_add3_u32 v6, v2, v6, s19
	v_lshrrev_b32_e32 v6, 20, v6
; %bb.33:                               ;   in Loop: Header=BB2_30 Depth=1
	s_andn2_saveexec_b64 s[12:13], s[12:13]
; %bb.34:                               ;   in Loop: Header=BB2_30 Depth=1
	v_add_f32_e64 v6, |v2|, s20
; %bb.35:                               ;   in Loop: Header=BB2_30 Depth=1
	s_or_b64 exec, exec, s[12:13]
.LBB2_36:                               ;   in Loop: Header=BB2_30 Depth=1
	s_or_b64 exec, exec, s[6:7]
	v_lshrrev_b32_e32 v2, 24, v2
	v_and_or_b32 v2, v2, s21, v6
	global_store_byte v12, v2, s[10:11]
	v_mul_f32_e32 v2, v3, v1
	v_mul_f32_e32 v2, v2, v7
	;; [unrolled: 1-line block ×3, first 2 shown]
	v_min_f32_e32 v2, 0x43e00000, v2
	v_max_f32_e32 v2, 0xc3e00000, v2
	v_and_b32_e32 v3, 0x7fffffff, v2
	v_cmp_gt_u32_e32 vcc, s16, v3
	s_and_saveexec_b64 s[6:7], vcc
	s_cbranch_execz .LBB2_42
; %bb.37:                               ;   in Loop: Header=BB2_30 Depth=1
	v_cmp_lt_u32_e32 vcc, s17, v3
                                        ; implicit-def: $vgpr14
	s_and_saveexec_b64 s[12:13], vcc
	s_xor_b64 s[12:13], exec, s[12:13]
; %bb.38:                               ;   in Loop: Header=BB2_30 Depth=1
	v_bfe_u32 v3, v2, 20, 1
	v_add3_u32 v3, v2, v3, s19
	v_lshrrev_b32_e32 v14, 20, v3
; %bb.39:                               ;   in Loop: Header=BB2_30 Depth=1
	s_andn2_saveexec_b64 s[12:13], s[12:13]
; %bb.40:                               ;   in Loop: Header=BB2_30 Depth=1
	v_add_f32_e64 v14, |v2|, s20
; %bb.41:                               ;   in Loop: Header=BB2_30 Depth=1
	s_or_b64 exec, exec, s[12:13]
.LBB2_42:                               ;   in Loop: Header=BB2_30 Depth=1
	s_or_b64 exec, exec, s[6:7]
	v_lshrrev_b32_e32 v2, 24, v2
	v_and_or_b32 v2, v2, s21, v14
	v_add_u32_e32 v3, 1, v12
	global_store_byte v3, v2, s[10:11]
	v_mul_f32_e32 v2, v4, v1
	v_mul_f32_e32 v2, v2, v8
	;; [unrolled: 1-line block ×3, first 2 shown]
	v_min_f32_e32 v2, 0x43e00000, v2
	v_max_f32_e32 v3, 0xc3e00000, v2
	v_and_b32_e32 v6, 0x7fffffff, v3
	v_cmp_gt_u32_e32 vcc, s16, v6
	v_mov_b32_e32 v2, 0x7f
	v_mov_b32_e32 v4, 0x7f
	s_and_saveexec_b64 s[6:7], vcc
	s_cbranch_execz .LBB2_48
; %bb.43:                               ;   in Loop: Header=BB2_30 Depth=1
	v_cmp_lt_u32_e32 vcc, s17, v6
                                        ; implicit-def: $vgpr4
	s_and_saveexec_b64 s[12:13], vcc
	s_xor_b64 s[12:13], exec, s[12:13]
; %bb.44:                               ;   in Loop: Header=BB2_30 Depth=1
	v_bfe_u32 v4, v3, 20, 1
	v_add3_u32 v4, v3, v4, s19
	v_lshrrev_b32_e32 v4, 20, v4
; %bb.45:                               ;   in Loop: Header=BB2_30 Depth=1
	s_andn2_saveexec_b64 s[12:13], s[12:13]
; %bb.46:                               ;   in Loop: Header=BB2_30 Depth=1
	v_add_f32_e64 v4, |v3|, s20
; %bb.47:                               ;   in Loop: Header=BB2_30 Depth=1
	s_or_b64 exec, exec, s[12:13]
.LBB2_48:                               ;   in Loop: Header=BB2_30 Depth=1
	s_or_b64 exec, exec, s[6:7]
	v_lshrrev_b32_e32 v3, 24, v3
	v_and_or_b32 v3, v3, s21, v4
	v_add_u32_e32 v4, 2, v12
	global_store_byte v4, v3, s[10:11]
	v_mul_f32_e32 v3, v5, v1
	v_mul_f32_e32 v3, v3, v9
	;; [unrolled: 1-line block ×3, first 2 shown]
	v_min_f32_e32 v3, 0x43e00000, v3
	v_max_f32_e32 v3, 0xc3e00000, v3
	v_and_b32_e32 v4, 0x7fffffff, v3
	v_cmp_gt_u32_e32 vcc, s16, v4
	s_and_saveexec_b64 s[6:7], vcc
	s_cbranch_execz .LBB2_29
; %bb.49:                               ;   in Loop: Header=BB2_30 Depth=1
	v_cmp_lt_u32_e32 vcc, s17, v4
                                        ; implicit-def: $vgpr2
	s_and_saveexec_b64 s[12:13], vcc
	s_xor_b64 s[12:13], exec, s[12:13]
; %bb.50:                               ;   in Loop: Header=BB2_30 Depth=1
	v_bfe_u32 v2, v3, 20, 1
	v_add3_u32 v2, v3, v2, s19
	v_lshrrev_b32_e32 v2, 20, v2
; %bb.51:                               ;   in Loop: Header=BB2_30 Depth=1
	s_andn2_saveexec_b64 s[12:13], s[12:13]
	s_cbranch_execz .LBB2_28
; %bb.52:                               ;   in Loop: Header=BB2_30 Depth=1
	v_add_f32_e64 v2, |v3|, s20
	s_branch .LBB2_28
.LBB2_53:
	s_endpgm
	.section	.rodata,"a",@progbits
	.p2align	6, 0x0
	.amdhsa_kernel _ZN4vllm32rms_norm_static_fp8_quant_kernelIfN3c1013Float8_e4m3fnELi4EEEvPT0_PKT_iS7_PKffii
		.amdhsa_group_segment_fixed_size 68
		.amdhsa_private_segment_fixed_size 0
		.amdhsa_kernarg_size 312
		.amdhsa_user_sgpr_count 2
		.amdhsa_user_sgpr_dispatch_ptr 0
		.amdhsa_user_sgpr_queue_ptr 0
		.amdhsa_user_sgpr_kernarg_segment_ptr 1
		.amdhsa_user_sgpr_dispatch_id 0
		.amdhsa_user_sgpr_kernarg_preload_length 0
		.amdhsa_user_sgpr_kernarg_preload_offset 0
		.amdhsa_user_sgpr_private_segment_size 0
		.amdhsa_uses_dynamic_stack 0
		.amdhsa_enable_private_segment 0
		.amdhsa_system_sgpr_workgroup_id_x 1
		.amdhsa_system_sgpr_workgroup_id_y 0
		.amdhsa_system_sgpr_workgroup_id_z 0
		.amdhsa_system_sgpr_workgroup_info 0
		.amdhsa_system_vgpr_workitem_id 0
		.amdhsa_next_free_vgpr 16
		.amdhsa_next_free_sgpr 22
		.amdhsa_accum_offset 16
		.amdhsa_reserve_vcc 1
		.amdhsa_float_round_mode_32 0
		.amdhsa_float_round_mode_16_64 0
		.amdhsa_float_denorm_mode_32 3
		.amdhsa_float_denorm_mode_16_64 3
		.amdhsa_dx10_clamp 1
		.amdhsa_ieee_mode 1
		.amdhsa_fp16_overflow 0
		.amdhsa_tg_split 0
		.amdhsa_exception_fp_ieee_invalid_op 0
		.amdhsa_exception_fp_denorm_src 0
		.amdhsa_exception_fp_ieee_div_zero 0
		.amdhsa_exception_fp_ieee_overflow 0
		.amdhsa_exception_fp_ieee_underflow 0
		.amdhsa_exception_fp_ieee_inexact 0
		.amdhsa_exception_int_div_zero 0
	.end_amdhsa_kernel
	.section	.text._ZN4vllm32rms_norm_static_fp8_quant_kernelIfN3c1013Float8_e4m3fnELi4EEEvPT0_PKT_iS7_PKffii,"axG",@progbits,_ZN4vllm32rms_norm_static_fp8_quant_kernelIfN3c1013Float8_e4m3fnELi4EEEvPT0_PKT_iS7_PKffii,comdat
.Lfunc_end2:
	.size	_ZN4vllm32rms_norm_static_fp8_quant_kernelIfN3c1013Float8_e4m3fnELi4EEEvPT0_PKT_iS7_PKffii, .Lfunc_end2-_ZN4vllm32rms_norm_static_fp8_quant_kernelIfN3c1013Float8_e4m3fnELi4EEEvPT0_PKT_iS7_PKffii
                                        ; -- End function
	.section	.AMDGPU.csdata,"",@progbits
; Kernel info:
; codeLenInByte = 2324
; NumSgprs: 28
; NumVgprs: 16
; NumAgprs: 0
; TotalNumVgprs: 16
; ScratchSize: 0
; MemoryBound: 0
; FloatMode: 240
; IeeeMode: 1
; LDSByteSize: 68 bytes/workgroup (compile time only)
; SGPRBlocks: 3
; VGPRBlocks: 1
; NumSGPRsForWavesPerEU: 28
; NumVGPRsForWavesPerEU: 16
; AccumOffset: 16
; Occupancy: 8
; WaveLimiterHint : 0
; COMPUTE_PGM_RSRC2:SCRATCH_EN: 0
; COMPUTE_PGM_RSRC2:USER_SGPR: 2
; COMPUTE_PGM_RSRC2:TRAP_HANDLER: 0
; COMPUTE_PGM_RSRC2:TGID_X_EN: 1
; COMPUTE_PGM_RSRC2:TGID_Y_EN: 0
; COMPUTE_PGM_RSRC2:TGID_Z_EN: 0
; COMPUTE_PGM_RSRC2:TIDIG_COMP_CNT: 0
; COMPUTE_PGM_RSRC3_GFX90A:ACCUM_OFFSET: 3
; COMPUTE_PGM_RSRC3_GFX90A:TG_SPLIT: 0
	.section	.text._ZN4vllm32rms_norm_static_fp8_quant_kernelIfN3c1013Float8_e4m3fnELi2EEEvPT0_PKT_iS7_PKffii,"axG",@progbits,_ZN4vllm32rms_norm_static_fp8_quant_kernelIfN3c1013Float8_e4m3fnELi2EEEvPT0_PKT_iS7_PKffii,comdat
	.protected	_ZN4vllm32rms_norm_static_fp8_quant_kernelIfN3c1013Float8_e4m3fnELi2EEEvPT0_PKT_iS7_PKffii ; -- Begin function _ZN4vllm32rms_norm_static_fp8_quant_kernelIfN3c1013Float8_e4m3fnELi2EEEvPT0_PKT_iS7_PKffii
	.globl	_ZN4vllm32rms_norm_static_fp8_quant_kernelIfN3c1013Float8_e4m3fnELi2EEEvPT0_PKT_iS7_PKffii
	.p2align	8
	.type	_ZN4vllm32rms_norm_static_fp8_quant_kernelIfN3c1013Float8_e4m3fnELi2EEEvPT0_PKT_iS7_PKffii,@function
_ZN4vllm32rms_norm_static_fp8_quant_kernelIfN3c1013Float8_e4m3fnELi2EEEvPT0_PKT_iS7_PKffii: ; @_ZN4vllm32rms_norm_static_fp8_quant_kernelIfN3c1013Float8_e4m3fnELi2EEEvPT0_PKT_iS7_PKffii
; %bb.0:
	s_load_dword s6, s[0:1], 0x10
	s_load_dwordx2 s[4:5], s[0:1], 0x8
	s_load_dword s3, s[0:1], 0x30
	s_load_dword s12, s[0:1], 0x44
	s_mov_b32 s11, 0
	s_waitcnt lgkmcnt(0)
	s_mul_i32 s10, s2, s6
	s_lshl_b64 s[6:7], s[10:11], 2
	s_add_u32 s8, s4, s6
	s_addc_u32 s9, s5, s7
	s_and_b32 s18, s12, 0xffff
	s_and_b32 s10, s8, 7
	s_cmp_lg_u64 s[10:11], 0
	s_cselect_b64 s[10:11], -1, 0
	s_bitcmp1_b32 s3, 0
	s_cselect_b64 s[12:13], -1, 0
	s_or_b64 s[10:11], s[10:11], s[12:13]
	s_and_b64 vcc, exec, s[10:11]
	s_cbranch_vccz .LBB3_13
; %bb.1:
	s_sub_i32 s10, 0, s8
	s_bfe_u32 s10, s10, 0x10002
	s_min_i32 s10, s10, s3
	v_cmp_gt_i32_e32 vcc, s10, v0
	v_mov_b32_e32 v3, 0
	s_and_saveexec_b64 s[12:13], vcc
	s_cbranch_execz .LBB3_4
; %bb.2:
	s_lshl_b32 s11, s18, 2
	s_mov_b32 s16, 0
	v_mov_b32_e32 v3, 0
	s_mov_b64 s[14:15], s[8:9]
.LBB3_3:                                ; =>This Inner Loop Header: Depth=1
	s_load_dword s17, s[14:15], 0x0
	s_add_i32 s16, s16, s18
	s_add_u32 s14, s14, s11
	s_addc_u32 s15, s15, 0
	s_cmp_ge_i32 s16, s10
	s_waitcnt lgkmcnt(0)
	v_fmac_f32_e64 v3, s17, s17
	s_cbranch_scc0 .LBB3_3
.LBB3_4:
	s_or_b64 exec, exec, s[12:13]
	s_sub_i32 s19, s3, s10
	s_lshr_b32 s12, s19, 31
	s_add_i32 s12, s19, s12
	s_ashr_i32 s20, s12, 1
	s_ashr_i32 s11, s10, 31
	v_cmp_gt_i32_e32 vcc, s20, v0
	s_and_saveexec_b64 s[12:13], vcc
	s_cbranch_execz .LBB3_8
; %bb.5:
	s_lshl_b64 s[16:17], s[10:11], 2
	s_add_u32 s14, s4, s6
	s_addc_u32 s21, s5, s7
	s_add_u32 s16, s14, s16
	v_lshlrev_b32_e32 v4, 3, v0
	v_mov_b32_e32 v5, 0
	s_addc_u32 s17, s21, s17
	v_lshl_add_u64 v[4:5], s[16:17], 0, v[4:5]
	s_mov_b32 s15, 0
	v_lshl_add_u64 v[4:5], v[4:5], 0, 4
	s_lshl_b32 s14, s18, 3
	s_mov_b64 s[16:17], 0
	v_mov_b32_e32 v1, v0
.LBB3_6:                                ; =>This Inner Loop Header: Depth=1
	global_load_dwordx2 v[6:7], v[4:5], off offset:-4
	v_add_u32_e32 v1, s18, v1
	v_cmp_le_i32_e32 vcc, s20, v1
	v_lshl_add_u64 v[4:5], v[4:5], 0, s[14:15]
	s_or_b64 s[16:17], vcc, s[16:17]
	s_waitcnt vmcnt(0)
	v_fmac_f32_e32 v3, v6, v6
	v_fmac_f32_e32 v3, v7, v7
	s_andn2_b64 exec, exec, s[16:17]
	s_cbranch_execnz .LBB3_6
; %bb.7:
	s_or_b64 exec, exec, s[16:17]
.LBB3_8:
	s_or_b64 exec, exec, s[12:13]
	v_lshl_add_u32 v4, s20, 1, v0
	v_cmp_gt_i32_e32 vcc, s19, v4
	s_and_saveexec_b64 s[12:13], vcc
	s_cbranch_execz .LBB3_12
; %bb.9:
	s_lshl_b64 s[10:11], s[10:11], 2
	s_add_u32 s14, s4, s6
	s_addc_u32 s15, s5, s7
	s_add_u32 s10, s14, s10
	v_ashrrev_i32_e32 v5, 31, v4
	s_addc_u32 s11, s15, s11
	v_lshl_add_u64 v[6:7], v[4:5], 2, s[10:11]
	s_lshl_b32 s10, s18, 2
	s_mov_b32 s11, 0
	s_mov_b64 s[14:15], 0
.LBB3_10:                               ; =>This Inner Loop Header: Depth=1
	global_load_dword v1, v[6:7], off
	v_add_u32_e32 v4, s18, v4
	v_cmp_le_i32_e32 vcc, s19, v4
	v_lshl_add_u64 v[6:7], v[6:7], 0, s[10:11]
	s_or_b64 s[14:15], vcc, s[14:15]
	s_waitcnt vmcnt(0)
	v_fmac_f32_e32 v3, v1, v1
	s_andn2_b64 exec, exec, s[14:15]
	s_cbranch_execnz .LBB3_10
; %bb.11:
	s_or_b64 exec, exec, s[14:15]
.LBB3_12:
	s_or_b64 exec, exec, s[12:13]
	s_branch .LBB3_19
.LBB3_13:
                                        ; implicit-def: $vgpr3
	s_cbranch_execz .LBB3_19
; %bb.14:
	s_ashr_i32 s14, s3, 1
	v_cmp_gt_i32_e32 vcc, s14, v0
	v_mov_b32_e32 v3, 0
	s_and_saveexec_b64 s[10:11], vcc
	s_cbranch_execz .LBB3_18
; %bb.15:
	s_add_u32 s4, s4, s6
	v_lshlrev_b32_e32 v2, 3, v0
	v_mov_b32_e32 v3, 0
	s_addc_u32 s5, s5, s7
	v_lshl_add_u64 v[4:5], s[4:5], 0, v[2:3]
	s_mov_b32 s13, 0
	v_lshl_add_u64 v[4:5], v[4:5], 0, 4
	s_lshl_b32 s12, s18, 3
	s_mov_b64 s[4:5], 0
	v_mov_b32_e32 v1, v0
.LBB3_16:                               ; =>This Inner Loop Header: Depth=1
	global_load_dwordx2 v[6:7], v[4:5], off offset:-4
	v_add_u32_e32 v1, s18, v1
	v_cmp_le_i32_e32 vcc, s14, v1
	v_lshl_add_u64 v[4:5], v[4:5], 0, s[12:13]
	s_or_b64 s[4:5], vcc, s[4:5]
	s_waitcnt vmcnt(0)
	v_fmac_f32_e32 v3, v6, v6
	v_fmac_f32_e32 v3, v7, v7
	s_andn2_b64 exec, exec, s[4:5]
	s_cbranch_execnz .LBB3_16
; %bb.17:
	s_or_b64 exec, exec, s[4:5]
.LBB3_18:
	s_or_b64 exec, exec, s[10:11]
.LBB3_19:
	v_mbcnt_lo_u32_b32 v1, -1, 0
	v_mbcnt_hi_u32_b32 v1, -1, v1
	v_and_b32_e32 v2, 63, v1
	v_cmp_ne_u32_e32 vcc, 63, v2
	v_and_b32_e32 v5, 0x3c0, v0
	v_sub_u32_e64 v5, s18, v5 clamp
	v_addc_co_u32_e32 v4, vcc, 0, v1, vcc
	v_lshlrev_b32_e32 v4, 2, v4
	ds_bpermute_b32 v4, v4, v3
	v_add_u32_e32 v6, 1, v1
	v_cmp_lt_u32_e32 vcc, v6, v5
	v_add_u32_e32 v6, 2, v1
	s_waitcnt lgkmcnt(0)
	v_add_f32_e32 v4, v3, v4
	v_cndmask_b32_e32 v3, v3, v4, vcc
	v_cmp_gt_u32_e32 vcc, 62, v2
	s_nop 1
	v_cndmask_b32_e64 v4, 0, 1, vcc
	v_lshlrev_b32_e32 v4, 1, v4
	v_add_lshl_u32 v4, v4, v1, 2
	ds_bpermute_b32 v4, v4, v3
	v_cmp_lt_u32_e32 vcc, v6, v5
	v_add_u32_e32 v6, 4, v1
	s_waitcnt lgkmcnt(0)
	v_add_f32_e32 v4, v3, v4
	v_cndmask_b32_e32 v3, v3, v4, vcc
	v_cmp_gt_u32_e32 vcc, 60, v2
	s_nop 1
	v_cndmask_b32_e64 v4, 0, 1, vcc
	v_lshlrev_b32_e32 v4, 2, v4
	v_add_lshl_u32 v4, v4, v1, 2
	ds_bpermute_b32 v4, v4, v3
	;; [unrolled: 11-line block ×4, first 2 shown]
	v_cmp_lt_u32_e32 vcc, v6, v5
	s_waitcnt lgkmcnt(0)
	v_add_f32_e32 v4, v3, v4
	v_cndmask_b32_e32 v3, v3, v4, vcc
	v_cmp_gt_u32_e32 vcc, 32, v2
	v_add_u32_e32 v4, 32, v1
	s_nop 0
	v_cndmask_b32_e64 v2, 0, 1, vcc
	v_lshlrev_b32_e32 v2, 5, v2
	v_add_lshl_u32 v2, v2, v1, 2
	ds_bpermute_b32 v2, v2, v3
	v_cmp_lt_u32_e32 vcc, v4, v5
	s_waitcnt lgkmcnt(0)
	v_add_f32_e32 v2, v3, v2
	v_cndmask_b32_e32 v2, v3, v2, vcc
	v_cmp_eq_u32_e32 vcc, 0, v1
	s_and_saveexec_b64 s[4:5], vcc
	s_cbranch_execz .LBB3_21
; %bb.20:
	v_lshrrev_b32_e32 v3, 4, v0
	v_and_b32_e32 v3, 60, v3
	ds_write_b32 v3, v2
.LBB3_21:
	s_or_b64 exec, exec, s[4:5]
	v_cmp_gt_u32_e32 vcc, 16, v0
	s_waitcnt lgkmcnt(0)
	s_barrier
	s_and_saveexec_b64 s[6:7], vcc
	s_cbranch_execz .LBB3_23
; %bb.22:
	v_lshlrev_b32_e32 v2, 2, v1
	ds_read_b32 v2, v2
	v_and_b32_e32 v3, 15, v1
	v_cmp_ne_u32_e32 vcc, 15, v3
	s_add_i32 s4, s18, 63
	s_lshr_b32 s10, s4, 6
	v_addc_co_u32_e32 v4, vcc, 0, v1, vcc
	v_lshlrev_b32_e32 v4, 2, v4
	s_waitcnt lgkmcnt(0)
	ds_bpermute_b32 v4, v4, v2
	v_add_u32_e32 v5, 1, v3
	v_cmp_gt_u32_e64 s[4:5], 14, v3
	v_cmp_gt_u32_e32 vcc, s10, v5
	v_add_u32_e32 v6, 2, v3
	v_cndmask_b32_e64 v5, 0, 1, s[4:5]
	s_waitcnt lgkmcnt(0)
	v_add_f32_e32 v4, v2, v4
	v_lshlrev_b32_e32 v5, 1, v5
	v_cndmask_b32_e32 v4, v2, v4, vcc
	v_add_lshl_u32 v5, v5, v1, 2
	ds_bpermute_b32 v5, v5, v4
	v_cmp_gt_u32_e64 s[4:5], s10, v6
	v_add_u32_e32 v6, 4, v3
	s_waitcnt lgkmcnt(0)
	v_add_f32_e32 v5, v4, v5
	v_cndmask_b32_e64 v4, v4, v5, s[4:5]
	v_cmp_gt_u32_e64 s[4:5], 12, v3
	s_nop 1
	v_cndmask_b32_e64 v5, 0, 1, s[4:5]
	v_lshlrev_b32_e32 v5, 2, v5
	v_add_lshl_u32 v5, v5, v1, 2
	ds_bpermute_b32 v5, v5, v4
	v_cmp_gt_u32_e64 s[4:5], s10, v6
	s_waitcnt lgkmcnt(0)
	v_add_f32_e32 v5, v4, v5
	v_cndmask_b32_e64 v4, v4, v5, s[4:5]
	v_cmp_gt_u32_e64 s[4:5], 8, v3
	v_add_u32_e32 v3, 8, v3
	s_nop 0
	v_cndmask_b32_e64 v5, 0, 1, s[4:5]
	v_lshlrev_b32_e32 v5, 3, v5
	v_add_lshl_u32 v1, v5, v1, 2
	ds_bpermute_b32 v1, v1, v4
	v_cmp_gt_u32_e64 s[4:5], s10, v3
	s_waitcnt lgkmcnt(0)
	v_add_f32_e32 v1, v4, v1
	v_cndmask_b32_e64 v1, v4, v1, s[4:5]
	v_cndmask_b32_e32 v2, v2, v1, vcc
.LBB3_23:
	s_or_b64 exec, exec, s[6:7]
	v_cmp_eq_u32_e32 vcc, 0, v0
	s_and_saveexec_b64 s[4:5], vcc
	s_cbranch_execz .LBB3_25
; %bb.24:
	v_cvt_f32_i32_e32 v1, s3
	s_load_dword s10, s[0:1], 0x28
	v_div_scale_f32 v3, s[6:7], v1, v1, v2
	v_rcp_f32_e32 v4, v3
	v_div_scale_f32 v5, vcc, v2, v1, v2
	s_mov_b32 s6, 0x800000
	v_fma_f32 v6, -v3, v4, 1.0
	v_fmac_f32_e32 v4, v6, v4
	v_mul_f32_e32 v6, v5, v4
	v_fma_f32 v7, -v3, v6, v5
	v_fmac_f32_e32 v6, v7, v4
	v_fma_f32 v3, -v3, v6, v5
	v_div_fmas_f32 v3, v3, v4, v6
	v_div_fixup_f32 v1, v3, v1, v2
	s_waitcnt lgkmcnt(0)
	v_add_f32_e32 v1, s10, v1
	v_mul_f32_e32 v2, 0x4b800000, v1
	v_cmp_gt_f32_e32 vcc, s6, v1
	s_nop 1
	v_cndmask_b32_e32 v1, v1, v2, vcc
	v_rsq_f32_e32 v1, v1
	s_nop 0
	v_mul_f32_e32 v2, 0x45800000, v1
	v_cndmask_b32_e32 v1, v1, v2, vcc
	v_mov_b32_e32 v2, 0
	ds_write_b32 v2, v1 offset:64
.LBB3_25:
	s_or_b64 exec, exec, s[4:5]
	s_lshr_b32 s4, s3, 31
	s_add_i32 s4, s3, s4
	s_ashr_i32 s14, s4, 1
	v_cmp_gt_i32_e32 vcc, s14, v0
	s_waitcnt lgkmcnt(0)
	s_barrier
	s_and_saveexec_b64 s[4:5], vcc
	s_cbranch_execz .LBB3_40
; %bb.26:
	s_load_dwordx4 s[4:7], s[0:1], 0x18
	s_load_dwordx2 s[10:11], s[0:1], 0x0
	s_mul_i32 s2, s2, s3
	v_mov_b32_e32 v3, 0
	ds_read_b32 v1, v3 offset:64
	s_waitcnt lgkmcnt(0)
	s_load_dword s3, s[6:7], 0x0
	s_lshl_b32 s15, s18, 1
	v_lshl_or_b32 v2, v0, 3, 4
	v_lshl_add_u32 v8, v0, 1, s2
	s_mov_b32 s16, 0x43f00000
	s_waitcnt lgkmcnt(0)
	v_div_scale_f32 v4, s[0:1], s3, s3, 1.0
	v_rcp_f32_e32 v5, v4
	v_div_scale_f32 v6, vcc, 1.0, s3, 1.0
	s_lshl_b32 s0, s18, 3
	v_fma_f32 v7, -v4, v5, 1.0
	v_fmac_f32_e32 v5, v7, v5
	v_mul_f32_e32 v7, v6, v5
	v_fma_f32 v9, -v4, v7, v6
	v_fmac_f32_e32 v7, v9, v5
	v_fma_f32 v4, -v4, v7, v6
	v_div_fmas_f32 v4, v4, v5, v7
	v_div_fixup_f32 v9, v4, s3, 1.0
	s_mov_b32 s1, 0
	s_mov_b64 s[2:3], 0
	s_mov_b32 s17, 0x3c7fffff
	s_mov_b32 s19, 0x407ffff
	;; [unrolled: 1-line block ×3, first 2 shown]
	s_movk_i32 s21, 0x80
	s_branch .LBB3_29
.LBB3_27:                               ;   in Loop: Header=BB3_29 Depth=1
	s_or_b64 exec, exec, s[12:13]
.LBB3_28:                               ;   in Loop: Header=BB3_29 Depth=1
	s_or_b64 exec, exec, s[6:7]
	v_add_u32_e32 v0, s18, v0
	v_lshrrev_b32_e32 v4, 24, v4
	v_cmp_le_i32_e32 vcc, s14, v0
	v_and_or_b32 v4, v4, s21, v10
	v_add_u32_e32 v5, 1, v8
	v_add_u32_e32 v8, s15, v8
	s_or_b64 s[2:3], vcc, s[2:3]
	v_lshl_add_u64 v[2:3], v[2:3], 0, s[0:1]
	global_store_byte v5, v4, s[10:11]
	s_andn2_b64 exec, exec, s[2:3]
	s_cbranch_execz .LBB3_40
.LBB3_29:                               ; =>This Inner Loop Header: Depth=1
	v_lshl_add_u64 v[4:5], s[8:9], 0, v[2:3]
	global_load_dwordx2 v[4:5], v[4:5], off offset:-4
	v_lshl_add_u64 v[6:7], s[4:5], 0, v[2:3]
	global_load_dwordx2 v[6:7], v[6:7], off offset:-4
	v_mov_b32_e32 v10, 0x7f
	s_waitcnt vmcnt(1)
	v_mul_f32_e32 v4, v4, v1
	s_waitcnt vmcnt(0)
	v_mul_f32_e32 v4, v4, v6
	v_mul_f32_e32 v4, v9, v4
	v_min_f32_e32 v4, 0x43e00000, v4
	v_max_f32_e32 v4, 0xc3e00000, v4
	v_and_b32_e32 v11, 0x7fffffff, v4
	v_cmp_gt_u32_e32 vcc, s16, v11
	v_mov_b32_e32 v6, 0x7f
	s_and_saveexec_b64 s[6:7], vcc
	s_cbranch_execz .LBB3_35
; %bb.30:                               ;   in Loop: Header=BB3_29 Depth=1
	v_cmp_lt_u32_e32 vcc, s17, v11
                                        ; implicit-def: $vgpr6
	s_and_saveexec_b64 s[12:13], vcc
	s_xor_b64 s[12:13], exec, s[12:13]
; %bb.31:                               ;   in Loop: Header=BB3_29 Depth=1
	v_bfe_u32 v6, v4, 20, 1
	v_add3_u32 v6, v4, v6, s19
	v_lshrrev_b32_e32 v6, 20, v6
; %bb.32:                               ;   in Loop: Header=BB3_29 Depth=1
	s_andn2_saveexec_b64 s[12:13], s[12:13]
; %bb.33:                               ;   in Loop: Header=BB3_29 Depth=1
	v_add_f32_e64 v6, |v4|, s20
; %bb.34:                               ;   in Loop: Header=BB3_29 Depth=1
	s_or_b64 exec, exec, s[12:13]
.LBB3_35:                               ;   in Loop: Header=BB3_29 Depth=1
	s_or_b64 exec, exec, s[6:7]
	v_lshrrev_b32_e32 v4, 24, v4
	v_and_or_b32 v4, v4, s21, v6
	global_store_byte v8, v4, s[10:11]
	v_mul_f32_e32 v4, v5, v1
	v_mul_f32_e32 v4, v4, v7
	;; [unrolled: 1-line block ×3, first 2 shown]
	v_min_f32_e32 v4, 0x43e00000, v4
	v_max_f32_e32 v4, 0xc3e00000, v4
	v_and_b32_e32 v5, 0x7fffffff, v4
	v_cmp_gt_u32_e32 vcc, s16, v5
	s_and_saveexec_b64 s[6:7], vcc
	s_cbranch_execz .LBB3_28
; %bb.36:                               ;   in Loop: Header=BB3_29 Depth=1
	v_cmp_lt_u32_e32 vcc, s17, v5
                                        ; implicit-def: $vgpr10
	s_and_saveexec_b64 s[12:13], vcc
	s_xor_b64 s[12:13], exec, s[12:13]
; %bb.37:                               ;   in Loop: Header=BB3_29 Depth=1
	v_bfe_u32 v5, v4, 20, 1
	v_add3_u32 v5, v4, v5, s19
	v_lshrrev_b32_e32 v10, 20, v5
; %bb.38:                               ;   in Loop: Header=BB3_29 Depth=1
	s_andn2_saveexec_b64 s[12:13], s[12:13]
	s_cbranch_execz .LBB3_27
; %bb.39:                               ;   in Loop: Header=BB3_29 Depth=1
	v_add_f32_e64 v10, |v4|, s20
	s_branch .LBB3_27
.LBB3_40:
	s_endpgm
	.section	.rodata,"a",@progbits
	.p2align	6, 0x0
	.amdhsa_kernel _ZN4vllm32rms_norm_static_fp8_quant_kernelIfN3c1013Float8_e4m3fnELi2EEEvPT0_PKT_iS7_PKffii
		.amdhsa_group_segment_fixed_size 68
		.amdhsa_private_segment_fixed_size 0
		.amdhsa_kernarg_size 312
		.amdhsa_user_sgpr_count 2
		.amdhsa_user_sgpr_dispatch_ptr 0
		.amdhsa_user_sgpr_queue_ptr 0
		.amdhsa_user_sgpr_kernarg_segment_ptr 1
		.amdhsa_user_sgpr_dispatch_id 0
		.amdhsa_user_sgpr_kernarg_preload_length 0
		.amdhsa_user_sgpr_kernarg_preload_offset 0
		.amdhsa_user_sgpr_private_segment_size 0
		.amdhsa_uses_dynamic_stack 0
		.amdhsa_enable_private_segment 0
		.amdhsa_system_sgpr_workgroup_id_x 1
		.amdhsa_system_sgpr_workgroup_id_y 0
		.amdhsa_system_sgpr_workgroup_id_z 0
		.amdhsa_system_sgpr_workgroup_info 0
		.amdhsa_system_vgpr_workitem_id 0
		.amdhsa_next_free_vgpr 12
		.amdhsa_next_free_sgpr 22
		.amdhsa_accum_offset 12
		.amdhsa_reserve_vcc 1
		.amdhsa_float_round_mode_32 0
		.amdhsa_float_round_mode_16_64 0
		.amdhsa_float_denorm_mode_32 3
		.amdhsa_float_denorm_mode_16_64 3
		.amdhsa_dx10_clamp 1
		.amdhsa_ieee_mode 1
		.amdhsa_fp16_overflow 0
		.amdhsa_tg_split 0
		.amdhsa_exception_fp_ieee_invalid_op 0
		.amdhsa_exception_fp_denorm_src 0
		.amdhsa_exception_fp_ieee_div_zero 0
		.amdhsa_exception_fp_ieee_overflow 0
		.amdhsa_exception_fp_ieee_underflow 0
		.amdhsa_exception_fp_ieee_inexact 0
		.amdhsa_exception_int_div_zero 0
	.end_amdhsa_kernel
	.section	.text._ZN4vllm32rms_norm_static_fp8_quant_kernelIfN3c1013Float8_e4m3fnELi2EEEvPT0_PKT_iS7_PKffii,"axG",@progbits,_ZN4vllm32rms_norm_static_fp8_quant_kernelIfN3c1013Float8_e4m3fnELi2EEEvPT0_PKT_iS7_PKffii,comdat
.Lfunc_end3:
	.size	_ZN4vllm32rms_norm_static_fp8_quant_kernelIfN3c1013Float8_e4m3fnELi2EEEvPT0_PKT_iS7_PKffii, .Lfunc_end3-_ZN4vllm32rms_norm_static_fp8_quant_kernelIfN3c1013Float8_e4m3fnELi2EEEvPT0_PKT_iS7_PKffii
                                        ; -- End function
	.section	.AMDGPU.csdata,"",@progbits
; Kernel info:
; codeLenInByte = 2004
; NumSgprs: 28
; NumVgprs: 12
; NumAgprs: 0
; TotalNumVgprs: 12
; ScratchSize: 0
; MemoryBound: 0
; FloatMode: 240
; IeeeMode: 1
; LDSByteSize: 68 bytes/workgroup (compile time only)
; SGPRBlocks: 3
; VGPRBlocks: 1
; NumSGPRsForWavesPerEU: 28
; NumVGPRsForWavesPerEU: 12
; AccumOffset: 12
; Occupancy: 8
; WaveLimiterHint : 0
; COMPUTE_PGM_RSRC2:SCRATCH_EN: 0
; COMPUTE_PGM_RSRC2:USER_SGPR: 2
; COMPUTE_PGM_RSRC2:TRAP_HANDLER: 0
; COMPUTE_PGM_RSRC2:TGID_X_EN: 1
; COMPUTE_PGM_RSRC2:TGID_Y_EN: 0
; COMPUTE_PGM_RSRC2:TGID_Z_EN: 0
; COMPUTE_PGM_RSRC2:TIDIG_COMP_CNT: 0
; COMPUTE_PGM_RSRC3_GFX90A:ACCUM_OFFSET: 2
; COMPUTE_PGM_RSRC3_GFX90A:TG_SPLIT: 0
	.section	.text._ZN4vllm32rms_norm_static_fp8_quant_kernelIfN3c1013Float8_e4m3fnELi1EEEvPT0_PKT_iS7_PKffii,"axG",@progbits,_ZN4vllm32rms_norm_static_fp8_quant_kernelIfN3c1013Float8_e4m3fnELi1EEEvPT0_PKT_iS7_PKffii,comdat
	.protected	_ZN4vllm32rms_norm_static_fp8_quant_kernelIfN3c1013Float8_e4m3fnELi1EEEvPT0_PKT_iS7_PKffii ; -- Begin function _ZN4vllm32rms_norm_static_fp8_quant_kernelIfN3c1013Float8_e4m3fnELi1EEEvPT0_PKT_iS7_PKffii
	.globl	_ZN4vllm32rms_norm_static_fp8_quant_kernelIfN3c1013Float8_e4m3fnELi1EEEvPT0_PKT_iS7_PKffii
	.p2align	8
	.type	_ZN4vllm32rms_norm_static_fp8_quant_kernelIfN3c1013Float8_e4m3fnELi1EEEvPT0_PKT_iS7_PKffii,@function
_ZN4vllm32rms_norm_static_fp8_quant_kernelIfN3c1013Float8_e4m3fnELi1EEEvPT0_PKT_iS7_PKffii: ; @_ZN4vllm32rms_norm_static_fp8_quant_kernelIfN3c1013Float8_e4m3fnELi1EEEvPT0_PKT_iS7_PKffii
; %bb.0:
	s_load_dword s3, s[0:1], 0x10
	s_load_dwordx2 s[6:7], s[0:1], 0x8
	s_load_dword s16, s[0:1], 0x30
	s_load_dword s12, s[0:1], 0x44
	s_mov_b32 s5, 0
	s_waitcnt lgkmcnt(0)
	s_mul_i32 s4, s2, s3
	s_lshl_b64 s[10:11], s[4:5], 2
	s_add_u32 s8, s6, s10
	s_addc_u32 s9, s7, s11
	s_and_b32 s17, s12, 0xffff
	s_and_b32 s4, s8, 3
	s_cmp_lg_u64 s[4:5], 0
	s_cbranch_scc0 .LBB4_6
; %bb.1:
	s_min_i32 s12, s16, 0
	s_sub_i32 s3, s16, s12
	v_cmp_gt_i32_e32 vcc, s3, v0
	v_mov_b32_e32 v3, 0
	s_and_saveexec_b64 s[4:5], vcc
	s_cbranch_execz .LBB4_5
; %bb.2:
	s_ashr_i32 s13, s12, 31
	s_lshl_b64 s[14:15], s[12:13], 2
	s_add_u32 s12, s6, s10
	s_addc_u32 s18, s7, s11
	s_add_u32 s14, s12, s14
	v_lshlrev_b32_e32 v2, 2, v0
	v_mov_b32_e32 v3, 0
	s_addc_u32 s15, s18, s15
	s_mov_b32 s13, 0
	v_lshl_add_u64 v[4:5], s[14:15], 0, v[2:3]
	s_lshl_b32 s12, s17, 2
	s_mov_b64 s[14:15], 0
	v_mov_b32_e32 v1, v0
.LBB4_3:                                ; =>This Inner Loop Header: Depth=1
	global_load_dword v2, v[4:5], off
	v_add_u32_e32 v1, s17, v1
	v_cmp_le_i32_e32 vcc, s3, v1
	v_lshl_add_u64 v[4:5], v[4:5], 0, s[12:13]
	s_or_b64 s[14:15], vcc, s[14:15]
	s_waitcnt vmcnt(0)
	v_fmac_f32_e32 v3, v2, v2
	s_andn2_b64 exec, exec, s[14:15]
	s_cbranch_execnz .LBB4_3
; %bb.4:
	s_or_b64 exec, exec, s[14:15]
.LBB4_5:
	s_or_b64 exec, exec, s[4:5]
	v_cmp_gt_i32_e64 s[4:5], s16, v0
	s_cbranch_execz .LBB4_7
	s_branch .LBB4_12
.LBB4_6:
                                        ; implicit-def: $vgpr3
	v_cmp_gt_i32_e64 s[4:5], s16, v0
.LBB4_7:
	v_mov_b32_e32 v3, 0
	s_and_saveexec_b64 s[12:13], s[4:5]
	s_cbranch_execz .LBB4_11
; %bb.8:
	s_add_u32 s6, s6, s10
	v_lshlrev_b32_e32 v2, 2, v0
	v_mov_b32_e32 v3, 0
	s_addc_u32 s7, s7, s11
	s_mov_b32 s5, 0
	v_lshl_add_u64 v[4:5], s[6:7], 0, v[2:3]
	s_lshl_b32 s4, s17, 2
	s_mov_b64 s[6:7], 0
	v_mov_b32_e32 v1, v0
.LBB4_9:                                ; =>This Inner Loop Header: Depth=1
	global_load_dword v2, v[4:5], off
	v_add_u32_e32 v1, s17, v1
	v_cmp_le_i32_e32 vcc, s16, v1
	v_lshl_add_u64 v[4:5], v[4:5], 0, s[4:5]
	s_or_b64 s[6:7], vcc, s[6:7]
	s_waitcnt vmcnt(0)
	v_fmac_f32_e32 v3, v2, v2
	s_andn2_b64 exec, exec, s[6:7]
	s_cbranch_execnz .LBB4_9
; %bb.10:
	s_or_b64 exec, exec, s[6:7]
.LBB4_11:
	s_or_b64 exec, exec, s[12:13]
.LBB4_12:
	v_mbcnt_lo_u32_b32 v1, -1, 0
	v_mbcnt_hi_u32_b32 v1, -1, v1
	v_and_b32_e32 v2, 63, v1
	v_cmp_ne_u32_e32 vcc, 63, v2
	v_and_b32_e32 v5, 0x3c0, v0
	v_sub_u32_e64 v5, s17, v5 clamp
	v_addc_co_u32_e32 v4, vcc, 0, v1, vcc
	v_lshlrev_b32_e32 v4, 2, v4
	ds_bpermute_b32 v4, v4, v3
	v_add_u32_e32 v6, 1, v1
	v_cmp_lt_u32_e32 vcc, v6, v5
	v_add_u32_e32 v6, 2, v1
	s_waitcnt lgkmcnt(0)
	v_add_f32_e32 v4, v3, v4
	v_cndmask_b32_e32 v3, v3, v4, vcc
	v_cmp_gt_u32_e32 vcc, 62, v2
	s_nop 1
	v_cndmask_b32_e64 v4, 0, 1, vcc
	v_lshlrev_b32_e32 v4, 1, v4
	v_add_lshl_u32 v4, v4, v1, 2
	ds_bpermute_b32 v4, v4, v3
	v_cmp_lt_u32_e32 vcc, v6, v5
	v_add_u32_e32 v6, 4, v1
	s_waitcnt lgkmcnt(0)
	v_add_f32_e32 v4, v3, v4
	v_cndmask_b32_e32 v3, v3, v4, vcc
	v_cmp_gt_u32_e32 vcc, 60, v2
	s_nop 1
	v_cndmask_b32_e64 v4, 0, 1, vcc
	v_lshlrev_b32_e32 v4, 2, v4
	v_add_lshl_u32 v4, v4, v1, 2
	ds_bpermute_b32 v4, v4, v3
	;; [unrolled: 11-line block ×4, first 2 shown]
	v_cmp_lt_u32_e32 vcc, v6, v5
	s_waitcnt lgkmcnt(0)
	v_add_f32_e32 v4, v3, v4
	v_cndmask_b32_e32 v3, v3, v4, vcc
	v_cmp_gt_u32_e32 vcc, 32, v2
	v_add_u32_e32 v4, 32, v1
	s_nop 0
	v_cndmask_b32_e64 v2, 0, 1, vcc
	v_lshlrev_b32_e32 v2, 5, v2
	v_add_lshl_u32 v2, v2, v1, 2
	ds_bpermute_b32 v2, v2, v3
	v_cmp_lt_u32_e32 vcc, v4, v5
	s_waitcnt lgkmcnt(0)
	v_add_f32_e32 v2, v3, v2
	v_cndmask_b32_e32 v2, v3, v2, vcc
	v_cmp_eq_u32_e32 vcc, 0, v1
	s_and_saveexec_b64 s[4:5], vcc
	s_cbranch_execz .LBB4_14
; %bb.13:
	v_lshrrev_b32_e32 v3, 4, v0
	v_and_b32_e32 v3, 60, v3
	ds_write_b32 v3, v2
.LBB4_14:
	s_or_b64 exec, exec, s[4:5]
	v_cmp_gt_u32_e32 vcc, 16, v0
	s_waitcnt lgkmcnt(0)
	s_barrier
	s_and_saveexec_b64 s[6:7], vcc
	s_cbranch_execz .LBB4_16
; %bb.15:
	v_lshlrev_b32_e32 v2, 2, v1
	ds_read_b32 v2, v2
	v_and_b32_e32 v3, 15, v1
	v_cmp_ne_u32_e32 vcc, 15, v3
	s_add_i32 s3, s17, 63
	s_lshr_b32 s3, s3, 6
	v_addc_co_u32_e32 v4, vcc, 0, v1, vcc
	v_lshlrev_b32_e32 v4, 2, v4
	s_waitcnt lgkmcnt(0)
	ds_bpermute_b32 v4, v4, v2
	v_add_u32_e32 v5, 1, v3
	v_cmp_gt_u32_e64 s[4:5], 14, v3
	v_cmp_gt_u32_e32 vcc, s3, v5
	v_add_u32_e32 v6, 2, v3
	v_cndmask_b32_e64 v5, 0, 1, s[4:5]
	s_waitcnt lgkmcnt(0)
	v_add_f32_e32 v4, v2, v4
	v_lshlrev_b32_e32 v5, 1, v5
	v_cndmask_b32_e32 v4, v2, v4, vcc
	v_add_lshl_u32 v5, v5, v1, 2
	ds_bpermute_b32 v5, v5, v4
	v_cmp_gt_u32_e64 s[4:5], s3, v6
	v_add_u32_e32 v6, 4, v3
	s_waitcnt lgkmcnt(0)
	v_add_f32_e32 v5, v4, v5
	v_cndmask_b32_e64 v4, v4, v5, s[4:5]
	v_cmp_gt_u32_e64 s[4:5], 12, v3
	s_nop 1
	v_cndmask_b32_e64 v5, 0, 1, s[4:5]
	v_lshlrev_b32_e32 v5, 2, v5
	v_add_lshl_u32 v5, v5, v1, 2
	ds_bpermute_b32 v5, v5, v4
	v_cmp_gt_u32_e64 s[4:5], s3, v6
	s_waitcnt lgkmcnt(0)
	v_add_f32_e32 v5, v4, v5
	v_cndmask_b32_e64 v4, v4, v5, s[4:5]
	v_cmp_gt_u32_e64 s[4:5], 8, v3
	v_add_u32_e32 v3, 8, v3
	s_nop 0
	v_cndmask_b32_e64 v5, 0, 1, s[4:5]
	v_lshlrev_b32_e32 v5, 3, v5
	v_add_lshl_u32 v1, v5, v1, 2
	ds_bpermute_b32 v1, v1, v4
	v_cmp_gt_u32_e64 s[4:5], s3, v3
	s_waitcnt lgkmcnt(0)
	v_add_f32_e32 v1, v4, v1
	v_cndmask_b32_e64 v1, v4, v1, s[4:5]
	v_cndmask_b32_e32 v2, v2, v1, vcc
.LBB4_16:
	s_or_b64 exec, exec, s[6:7]
	v_cmp_eq_u32_e32 vcc, 0, v0
	s_and_saveexec_b64 s[4:5], vcc
	s_cbranch_execz .LBB4_18
; %bb.17:
	v_cvt_f32_i32_e32 v1, s16
	s_load_dword s3, s[0:1], 0x28
	v_div_scale_f32 v3, s[6:7], v1, v1, v2
	v_rcp_f32_e32 v4, v3
	v_div_scale_f32 v5, vcc, v2, v1, v2
	s_mov_b32 s6, 0x800000
	v_fma_f32 v6, -v3, v4, 1.0
	v_fmac_f32_e32 v4, v6, v4
	v_mul_f32_e32 v6, v5, v4
	v_fma_f32 v7, -v3, v6, v5
	v_fmac_f32_e32 v6, v7, v4
	v_fma_f32 v3, -v3, v6, v5
	v_div_fmas_f32 v3, v3, v4, v6
	v_div_fixup_f32 v1, v3, v1, v2
	s_waitcnt lgkmcnt(0)
	v_add_f32_e32 v1, s3, v1
	v_mul_f32_e32 v2, 0x4b800000, v1
	v_cmp_gt_f32_e32 vcc, s6, v1
	s_nop 1
	v_cndmask_b32_e32 v1, v1, v2, vcc
	v_rsq_f32_e32 v1, v1
	s_nop 0
	v_mul_f32_e32 v2, 0x45800000, v1
	v_cndmask_b32_e32 v1, v1, v2, vcc
	v_mov_b32_e32 v2, 0
	ds_write_b32 v2, v1 offset:64
.LBB4_18:
	s_or_b64 exec, exec, s[4:5]
	v_cmp_gt_i32_e32 vcc, s16, v0
	s_waitcnt lgkmcnt(0)
	s_barrier
	s_and_saveexec_b64 s[4:5], vcc
	s_cbranch_execz .LBB4_27
; %bb.19:
	s_load_dwordx4 s[4:7], s[0:1], 0x18
	s_load_dwordx2 s[10:11], s[0:1], 0x0
	s_mul_i32 s12, s2, s16
	v_mov_b32_e32 v1, 0
	ds_read_b32 v2, v1 offset:64
	s_waitcnt lgkmcnt(0)
	s_load_dword s6, s[6:7], 0x0
	s_mov_b64 s[0:1], 0
	s_mov_b32 s13, 0x43f00000
	s_mov_b32 s14, 0x3c7fffff
	;; [unrolled: 1-line block ×3, first 2 shown]
	s_waitcnt lgkmcnt(0)
	v_div_scale_f32 v3, s[2:3], s6, s6, 1.0
	v_rcp_f32_e32 v4, v3
	v_div_scale_f32 v1, vcc, 1.0, s6, 1.0
	s_mov_b32 s18, 0x46800000
	v_fma_f32 v5, -v3, v4, 1.0
	v_fmac_f32_e32 v4, v5, v4
	v_mul_f32_e32 v5, v1, v4
	v_fma_f32 v6, -v3, v5, v1
	v_fmac_f32_e32 v5, v6, v4
	v_fma_f32 v1, -v3, v5, v1
	v_div_fmas_f32 v1, v1, v4, v5
	v_div_fixup_f32 v3, v1, s6, 1.0
	s_movk_i32 s19, 0x80
	s_branch .LBB4_22
.LBB4_20:                               ;   in Loop: Header=BB4_22 Depth=1
	s_or_b64 exec, exec, s[6:7]
.LBB4_21:                               ;   in Loop: Header=BB4_22 Depth=1
	s_or_b64 exec, exec, s[2:3]
	v_lshrrev_b32_e32 v1, 24, v1
	v_and_or_b32 v1, v1, s19, v4
	v_add_u32_e32 v4, s12, v0
	v_add_u32_e32 v0, s17, v0
	v_cmp_le_i32_e32 vcc, s16, v0
	s_or_b64 s[0:1], vcc, s[0:1]
	global_store_byte v4, v1, s[10:11]
	s_andn2_b64 exec, exec, s[0:1]
	s_cbranch_execz .LBB4_27
.LBB4_22:                               ; =>This Inner Loop Header: Depth=1
	v_ashrrev_i32_e32 v1, 31, v0
	v_lshlrev_b64 v[4:5], 2, v[0:1]
	v_lshl_add_u64 v[6:7], s[8:9], 0, v[4:5]
	global_load_dword v1, v[6:7], off
	v_lshl_add_u64 v[4:5], s[4:5], 0, v[4:5]
	global_load_dword v4, v[4:5], off
	s_waitcnt vmcnt(1)
	v_mul_f32_e32 v1, v1, v2
	s_waitcnt vmcnt(0)
	v_mul_f32_e32 v1, v4, v1
	v_mul_f32_e32 v1, v3, v1
	v_min_f32_e32 v1, 0x43e00000, v1
	v_max_f32_e32 v1, 0xc3e00000, v1
	v_and_b32_e32 v5, 0x7fffffff, v1
	v_cmp_gt_u32_e32 vcc, s13, v5
	v_mov_b32_e32 v4, 0x7f
	s_and_saveexec_b64 s[2:3], vcc
	s_cbranch_execz .LBB4_21
; %bb.23:                               ;   in Loop: Header=BB4_22 Depth=1
	v_cmp_lt_u32_e32 vcc, s14, v5
                                        ; implicit-def: $vgpr4
	s_and_saveexec_b64 s[6:7], vcc
	s_xor_b64 s[6:7], exec, s[6:7]
; %bb.24:                               ;   in Loop: Header=BB4_22 Depth=1
	v_bfe_u32 v4, v1, 20, 1
	v_add3_u32 v4, v1, v4, s15
	v_lshrrev_b32_e32 v4, 20, v4
; %bb.25:                               ;   in Loop: Header=BB4_22 Depth=1
	s_andn2_saveexec_b64 s[6:7], s[6:7]
	s_cbranch_execz .LBB4_20
; %bb.26:                               ;   in Loop: Header=BB4_22 Depth=1
	v_add_f32_e64 v4, |v1|, s18
	s_branch .LBB4_20
.LBB4_27:
	s_endpgm
	.section	.rodata,"a",@progbits
	.p2align	6, 0x0
	.amdhsa_kernel _ZN4vllm32rms_norm_static_fp8_quant_kernelIfN3c1013Float8_e4m3fnELi1EEEvPT0_PKT_iS7_PKffii
		.amdhsa_group_segment_fixed_size 68
		.amdhsa_private_segment_fixed_size 0
		.amdhsa_kernarg_size 312
		.amdhsa_user_sgpr_count 2
		.amdhsa_user_sgpr_dispatch_ptr 0
		.amdhsa_user_sgpr_queue_ptr 0
		.amdhsa_user_sgpr_kernarg_segment_ptr 1
		.amdhsa_user_sgpr_dispatch_id 0
		.amdhsa_user_sgpr_kernarg_preload_length 0
		.amdhsa_user_sgpr_kernarg_preload_offset 0
		.amdhsa_user_sgpr_private_segment_size 0
		.amdhsa_uses_dynamic_stack 0
		.amdhsa_enable_private_segment 0
		.amdhsa_system_sgpr_workgroup_id_x 1
		.amdhsa_system_sgpr_workgroup_id_y 0
		.amdhsa_system_sgpr_workgroup_id_z 0
		.amdhsa_system_sgpr_workgroup_info 0
		.amdhsa_system_vgpr_workitem_id 0
		.amdhsa_next_free_vgpr 8
		.amdhsa_next_free_sgpr 20
		.amdhsa_accum_offset 8
		.amdhsa_reserve_vcc 1
		.amdhsa_float_round_mode_32 0
		.amdhsa_float_round_mode_16_64 0
		.amdhsa_float_denorm_mode_32 3
		.amdhsa_float_denorm_mode_16_64 3
		.amdhsa_dx10_clamp 1
		.amdhsa_ieee_mode 1
		.amdhsa_fp16_overflow 0
		.amdhsa_tg_split 0
		.amdhsa_exception_fp_ieee_invalid_op 0
		.amdhsa_exception_fp_denorm_src 0
		.amdhsa_exception_fp_ieee_div_zero 0
		.amdhsa_exception_fp_ieee_overflow 0
		.amdhsa_exception_fp_ieee_underflow 0
		.amdhsa_exception_fp_ieee_inexact 0
		.amdhsa_exception_int_div_zero 0
	.end_amdhsa_kernel
	.section	.text._ZN4vllm32rms_norm_static_fp8_quant_kernelIfN3c1013Float8_e4m3fnELi1EEEvPT0_PKT_iS7_PKffii,"axG",@progbits,_ZN4vllm32rms_norm_static_fp8_quant_kernelIfN3c1013Float8_e4m3fnELi1EEEvPT0_PKT_iS7_PKffii,comdat
.Lfunc_end4:
	.size	_ZN4vllm32rms_norm_static_fp8_quant_kernelIfN3c1013Float8_e4m3fnELi1EEEvPT0_PKT_iS7_PKffii, .Lfunc_end4-_ZN4vllm32rms_norm_static_fp8_quant_kernelIfN3c1013Float8_e4m3fnELi1EEEvPT0_PKT_iS7_PKffii
                                        ; -- End function
	.section	.AMDGPU.csdata,"",@progbits
; Kernel info:
; codeLenInByte = 1588
; NumSgprs: 26
; NumVgprs: 8
; NumAgprs: 0
; TotalNumVgprs: 8
; ScratchSize: 0
; MemoryBound: 0
; FloatMode: 240
; IeeeMode: 1
; LDSByteSize: 68 bytes/workgroup (compile time only)
; SGPRBlocks: 3
; VGPRBlocks: 0
; NumSGPRsForWavesPerEU: 26
; NumVGPRsForWavesPerEU: 8
; AccumOffset: 8
; Occupancy: 8
; WaveLimiterHint : 0
; COMPUTE_PGM_RSRC2:SCRATCH_EN: 0
; COMPUTE_PGM_RSRC2:USER_SGPR: 2
; COMPUTE_PGM_RSRC2:TRAP_HANDLER: 0
; COMPUTE_PGM_RSRC2:TGID_X_EN: 1
; COMPUTE_PGM_RSRC2:TGID_Y_EN: 0
; COMPUTE_PGM_RSRC2:TGID_Z_EN: 0
; COMPUTE_PGM_RSRC2:TIDIG_COMP_CNT: 0
; COMPUTE_PGM_RSRC3_GFX90A:ACCUM_OFFSET: 1
; COMPUTE_PGM_RSRC3_GFX90A:TG_SPLIT: 0
	.section	.text._ZN4vllm32rms_norm_static_fp8_quant_kernelIfN3c1015Float8_e4m3fnuzELi16EEEvPT0_PKT_iS7_PKffii,"axG",@progbits,_ZN4vllm32rms_norm_static_fp8_quant_kernelIfN3c1015Float8_e4m3fnuzELi16EEEvPT0_PKT_iS7_PKffii,comdat
	.protected	_ZN4vllm32rms_norm_static_fp8_quant_kernelIfN3c1015Float8_e4m3fnuzELi16EEEvPT0_PKT_iS7_PKffii ; -- Begin function _ZN4vllm32rms_norm_static_fp8_quant_kernelIfN3c1015Float8_e4m3fnuzELi16EEEvPT0_PKT_iS7_PKffii
	.globl	_ZN4vllm32rms_norm_static_fp8_quant_kernelIfN3c1015Float8_e4m3fnuzELi16EEEvPT0_PKT_iS7_PKffii
	.p2align	8
	.type	_ZN4vllm32rms_norm_static_fp8_quant_kernelIfN3c1015Float8_e4m3fnuzELi16EEEvPT0_PKT_iS7_PKffii,@function
_ZN4vllm32rms_norm_static_fp8_quant_kernelIfN3c1015Float8_e4m3fnuzELi16EEEvPT0_PKT_iS7_PKffii: ; @_ZN4vllm32rms_norm_static_fp8_quant_kernelIfN3c1015Float8_e4m3fnuzELi16EEEvPT0_PKT_iS7_PKffii
; %bb.0:
	s_load_dword s6, s[0:1], 0x10
	s_load_dwordx2 s[4:5], s[0:1], 0x8
	s_load_dword s3, s[0:1], 0x30
	s_load_dword s12, s[0:1], 0x44
	s_mov_b32 s9, 0
	s_waitcnt lgkmcnt(0)
	s_mul_i32 s8, s2, s6
	s_lshl_b64 s[6:7], s[8:9], 2
	s_add_u32 s10, s4, s6
	s_addc_u32 s11, s5, s7
	s_and_b32 s18, s12, 0xffff
	s_and_b32 s8, s10, 63
	s_cmp_lg_u64 s[8:9], 0
	s_cselect_b64 s[8:9], -1, 0
	s_and_b32 s12, s3, 15
	s_cmp_lg_u32 s12, 0
	s_cselect_b64 s[12:13], -1, 0
	s_or_b64 s[8:9], s[8:9], s[12:13]
	s_and_b64 vcc, exec, s[8:9]
	s_cbranch_vccz .LBB5_14
; %bb.1:
	s_sub_i32 s8, 0, s10
	s_bfe_u32 s8, s8, 0x40002
	s_min_i32 s8, s8, s3
	v_cmp_gt_i32_e32 vcc, s8, v0
	v_mov_b32_e32 v3, 0
	s_and_saveexec_b64 s[12:13], vcc
	s_cbranch_execz .LBB5_5
; %bb.2:
	s_add_u32 s16, s4, s6
	v_lshlrev_b32_e32 v2, 2, v0
	v_mov_b32_e32 v3, 0
	s_addc_u32 s17, s5, s7
	s_mov_b32 s15, 0
	v_lshl_add_u64 v[4:5], s[16:17], 0, v[2:3]
	s_lshl_b32 s14, s18, 2
	s_mov_b64 s[16:17], 0
	v_mov_b32_e32 v1, v0
.LBB5_3:                                ; =>This Inner Loop Header: Depth=1
	global_load_dword v2, v[4:5], off
	v_add_u32_e32 v1, s18, v1
	v_cmp_le_i32_e32 vcc, s8, v1
	v_lshl_add_u64 v[4:5], v[4:5], 0, s[14:15]
	s_or_b64 s[16:17], vcc, s[16:17]
	s_waitcnt vmcnt(0)
	v_fmac_f32_e32 v3, v2, v2
	s_andn2_b64 exec, exec, s[16:17]
	s_cbranch_execnz .LBB5_3
; %bb.4:
	s_or_b64 exec, exec, s[16:17]
.LBB5_5:
	s_or_b64 exec, exec, s[12:13]
	s_sub_i32 s19, s3, s8
	s_ashr_i32 s12, s19, 31
	s_lshr_b32 s12, s12, 28
	s_add_i32 s12, s19, s12
	s_ashr_i32 s20, s12, 4
	s_ashr_i32 s9, s8, 31
	v_cmp_gt_i32_e32 vcc, s20, v0
	s_and_saveexec_b64 s[12:13], vcc
	s_cbranch_execz .LBB5_9
; %bb.6:
	s_lshl_b64 s[16:17], s[8:9], 2
	s_add_u32 s14, s4, s6
	s_addc_u32 s21, s5, s7
	s_add_u32 s16, s14, s16
	v_lshlrev_b32_e32 v4, 6, v0
	v_mov_b32_e32 v5, 0
	s_addc_u32 s17, s21, s17
	s_mov_b32 s15, 0
	v_lshl_add_u64 v[4:5], s[16:17], 0, v[4:5]
	s_lshl_b32 s14, s18, 6
	s_mov_b64 s[16:17], 0
	v_mov_b32_e32 v1, v0
.LBB5_7:                                ; =>This Inner Loop Header: Depth=1
	global_load_dwordx4 v[6:9], v[4:5], off
	global_load_dwordx4 v[10:13], v[4:5], off offset:16
	global_load_dwordx4 v[14:17], v[4:5], off offset:32
	;; [unrolled: 1-line block ×3, first 2 shown]
	v_add_u32_e32 v1, s18, v1
	v_cmp_le_i32_e32 vcc, s20, v1
	v_lshl_add_u64 v[4:5], v[4:5], 0, s[14:15]
	s_or_b64 s[16:17], vcc, s[16:17]
	s_waitcnt vmcnt(3)
	v_fmac_f32_e32 v3, v6, v6
	v_fmac_f32_e32 v3, v7, v7
	v_fmac_f32_e32 v3, v8, v8
	v_fmac_f32_e32 v3, v9, v9
	s_waitcnt vmcnt(2)
	v_fmac_f32_e32 v3, v10, v10
	v_fmac_f32_e32 v3, v11, v11
	v_fmac_f32_e32 v3, v12, v12
	v_fmac_f32_e32 v3, v13, v13
	;; [unrolled: 5-line block ×4, first 2 shown]
	s_andn2_b64 exec, exec, s[16:17]
	s_cbranch_execnz .LBB5_7
; %bb.8:
	s_or_b64 exec, exec, s[16:17]
.LBB5_9:
	s_or_b64 exec, exec, s[12:13]
	v_lshl_add_u32 v4, s20, 4, v0
	v_cmp_gt_i32_e32 vcc, s19, v4
	s_and_saveexec_b64 s[12:13], vcc
	s_cbranch_execz .LBB5_13
; %bb.10:
	s_lshl_b64 s[8:9], s[8:9], 2
	s_add_u32 s14, s4, s6
	s_addc_u32 s15, s5, s7
	s_add_u32 s8, s14, s8
	v_ashrrev_i32_e32 v5, 31, v4
	s_addc_u32 s9, s15, s9
	v_lshl_add_u64 v[6:7], v[4:5], 2, s[8:9]
	s_lshl_b32 s8, s18, 2
	s_mov_b32 s9, 0
	s_mov_b64 s[14:15], 0
.LBB5_11:                               ; =>This Inner Loop Header: Depth=1
	global_load_dword v1, v[6:7], off
	v_add_u32_e32 v4, s18, v4
	v_cmp_le_i32_e32 vcc, s19, v4
	v_lshl_add_u64 v[6:7], v[6:7], 0, s[8:9]
	s_or_b64 s[14:15], vcc, s[14:15]
	s_waitcnt vmcnt(0)
	v_fmac_f32_e32 v3, v1, v1
	s_andn2_b64 exec, exec, s[14:15]
	s_cbranch_execnz .LBB5_11
; %bb.12:
	s_or_b64 exec, exec, s[14:15]
.LBB5_13:
	s_or_b64 exec, exec, s[12:13]
	s_branch .LBB5_20
.LBB5_14:
                                        ; implicit-def: $vgpr3
	s_cbranch_execz .LBB5_20
; %bb.15:
	s_ashr_i32 s14, s3, 4
	v_cmp_gt_i32_e32 vcc, s14, v0
	v_mov_b32_e32 v3, 0
	s_and_saveexec_b64 s[8:9], vcc
	s_cbranch_execz .LBB5_19
; %bb.16:
	s_add_u32 s4, s4, s6
	v_lshlrev_b32_e32 v2, 6, v0
	v_mov_b32_e32 v3, 0
	s_addc_u32 s5, s5, s7
	s_mov_b32 s13, 0
	v_lshl_add_u64 v[4:5], s[4:5], 0, v[2:3]
	s_lshl_b32 s12, s18, 6
	s_mov_b64 s[4:5], 0
	v_mov_b32_e32 v1, v0
.LBB5_17:                               ; =>This Inner Loop Header: Depth=1
	global_load_dwordx4 v[6:9], v[4:5], off
	global_load_dwordx4 v[10:13], v[4:5], off offset:16
	global_load_dwordx4 v[14:17], v[4:5], off offset:32
	;; [unrolled: 1-line block ×3, first 2 shown]
	v_add_u32_e32 v1, s18, v1
	v_cmp_le_i32_e32 vcc, s14, v1
	v_lshl_add_u64 v[4:5], v[4:5], 0, s[12:13]
	s_or_b64 s[4:5], vcc, s[4:5]
	s_waitcnt vmcnt(3)
	v_fmac_f32_e32 v3, v6, v6
	v_fmac_f32_e32 v3, v7, v7
	v_fmac_f32_e32 v3, v8, v8
	v_fmac_f32_e32 v3, v9, v9
	s_waitcnt vmcnt(2)
	v_fmac_f32_e32 v3, v10, v10
	v_fmac_f32_e32 v3, v11, v11
	v_fmac_f32_e32 v3, v12, v12
	v_fmac_f32_e32 v3, v13, v13
	s_waitcnt vmcnt(1)
	v_fmac_f32_e32 v3, v14, v14
	v_fmac_f32_e32 v3, v15, v15
	v_fmac_f32_e32 v3, v16, v16
	v_fmac_f32_e32 v3, v17, v17
	s_waitcnt vmcnt(0)
	v_fmac_f32_e32 v3, v18, v18
	v_fmac_f32_e32 v3, v19, v19
	v_fmac_f32_e32 v3, v20, v20
	v_fmac_f32_e32 v3, v21, v21
	s_andn2_b64 exec, exec, s[4:5]
	s_cbranch_execnz .LBB5_17
; %bb.18:
	s_or_b64 exec, exec, s[4:5]
.LBB5_19:
	s_or_b64 exec, exec, s[8:9]
.LBB5_20:
	v_mbcnt_lo_u32_b32 v1, -1, 0
	v_mbcnt_hi_u32_b32 v1, -1, v1
	v_and_b32_e32 v2, 63, v1
	v_cmp_ne_u32_e32 vcc, 63, v2
	v_and_b32_e32 v5, 0x3c0, v0
	v_sub_u32_e64 v5, s18, v5 clamp
	v_addc_co_u32_e32 v4, vcc, 0, v1, vcc
	v_lshlrev_b32_e32 v4, 2, v4
	ds_bpermute_b32 v4, v4, v3
	v_add_u32_e32 v6, 1, v1
	v_cmp_lt_u32_e32 vcc, v6, v5
	v_add_u32_e32 v6, 2, v1
	s_waitcnt lgkmcnt(0)
	v_add_f32_e32 v4, v3, v4
	v_cndmask_b32_e32 v3, v3, v4, vcc
	v_cmp_gt_u32_e32 vcc, 62, v2
	s_nop 1
	v_cndmask_b32_e64 v4, 0, 1, vcc
	v_lshlrev_b32_e32 v4, 1, v4
	v_add_lshl_u32 v4, v4, v1, 2
	ds_bpermute_b32 v4, v4, v3
	v_cmp_lt_u32_e32 vcc, v6, v5
	v_add_u32_e32 v6, 4, v1
	s_waitcnt lgkmcnt(0)
	v_add_f32_e32 v4, v3, v4
	v_cndmask_b32_e32 v3, v3, v4, vcc
	v_cmp_gt_u32_e32 vcc, 60, v2
	s_nop 1
	v_cndmask_b32_e64 v4, 0, 1, vcc
	v_lshlrev_b32_e32 v4, 2, v4
	v_add_lshl_u32 v4, v4, v1, 2
	ds_bpermute_b32 v4, v4, v3
	;; [unrolled: 11-line block ×4, first 2 shown]
	v_cmp_lt_u32_e32 vcc, v6, v5
	s_waitcnt lgkmcnt(0)
	v_add_f32_e32 v4, v3, v4
	v_cndmask_b32_e32 v3, v3, v4, vcc
	v_cmp_gt_u32_e32 vcc, 32, v2
	v_add_u32_e32 v4, 32, v1
	s_nop 0
	v_cndmask_b32_e64 v2, 0, 1, vcc
	v_lshlrev_b32_e32 v2, 5, v2
	v_add_lshl_u32 v2, v2, v1, 2
	ds_bpermute_b32 v2, v2, v3
	v_cmp_lt_u32_e32 vcc, v4, v5
	s_waitcnt lgkmcnt(0)
	v_add_f32_e32 v2, v3, v2
	v_cndmask_b32_e32 v2, v3, v2, vcc
	v_cmp_eq_u32_e32 vcc, 0, v1
	s_and_saveexec_b64 s[4:5], vcc
	s_cbranch_execz .LBB5_22
; %bb.21:
	v_lshrrev_b32_e32 v3, 4, v0
	v_and_b32_e32 v3, 60, v3
	ds_write_b32 v3, v2
.LBB5_22:
	s_or_b64 exec, exec, s[4:5]
	v_cmp_gt_u32_e32 vcc, 16, v0
	s_waitcnt lgkmcnt(0)
	s_barrier
	s_and_saveexec_b64 s[6:7], vcc
	s_cbranch_execz .LBB5_24
; %bb.23:
	v_lshlrev_b32_e32 v2, 2, v1
	ds_read_b32 v2, v2
	v_and_b32_e32 v3, 15, v1
	v_cmp_ne_u32_e32 vcc, 15, v3
	s_add_i32 s4, s18, 63
	s_lshr_b32 s8, s4, 6
	v_addc_co_u32_e32 v4, vcc, 0, v1, vcc
	v_lshlrev_b32_e32 v4, 2, v4
	s_waitcnt lgkmcnt(0)
	ds_bpermute_b32 v4, v4, v2
	v_add_u32_e32 v5, 1, v3
	v_cmp_gt_u32_e64 s[4:5], 14, v3
	v_cmp_gt_u32_e32 vcc, s8, v5
	v_add_u32_e32 v6, 2, v3
	v_cndmask_b32_e64 v5, 0, 1, s[4:5]
	s_waitcnt lgkmcnt(0)
	v_add_f32_e32 v4, v2, v4
	v_lshlrev_b32_e32 v5, 1, v5
	v_cndmask_b32_e32 v4, v2, v4, vcc
	v_add_lshl_u32 v5, v5, v1, 2
	ds_bpermute_b32 v5, v5, v4
	v_cmp_gt_u32_e64 s[4:5], s8, v6
	v_add_u32_e32 v6, 4, v3
	s_waitcnt lgkmcnt(0)
	v_add_f32_e32 v5, v4, v5
	v_cndmask_b32_e64 v4, v4, v5, s[4:5]
	v_cmp_gt_u32_e64 s[4:5], 12, v3
	s_nop 1
	v_cndmask_b32_e64 v5, 0, 1, s[4:5]
	v_lshlrev_b32_e32 v5, 2, v5
	v_add_lshl_u32 v5, v5, v1, 2
	ds_bpermute_b32 v5, v5, v4
	v_cmp_gt_u32_e64 s[4:5], s8, v6
	s_waitcnt lgkmcnt(0)
	v_add_f32_e32 v5, v4, v5
	v_cndmask_b32_e64 v4, v4, v5, s[4:5]
	v_cmp_gt_u32_e64 s[4:5], 8, v3
	v_add_u32_e32 v3, 8, v3
	s_nop 0
	v_cndmask_b32_e64 v5, 0, 1, s[4:5]
	v_lshlrev_b32_e32 v5, 3, v5
	v_add_lshl_u32 v1, v5, v1, 2
	ds_bpermute_b32 v1, v1, v4
	v_cmp_gt_u32_e64 s[4:5], s8, v3
	s_waitcnt lgkmcnt(0)
	v_add_f32_e32 v1, v4, v1
	v_cndmask_b32_e64 v1, v4, v1, s[4:5]
	v_cndmask_b32_e32 v2, v2, v1, vcc
.LBB5_24:
	s_or_b64 exec, exec, s[6:7]
	v_cmp_eq_u32_e32 vcc, 0, v0
	s_and_saveexec_b64 s[4:5], vcc
	s_cbranch_execz .LBB5_26
; %bb.25:
	v_cvt_f32_i32_e32 v1, s3
	s_load_dword s8, s[0:1], 0x28
	v_div_scale_f32 v3, s[6:7], v1, v1, v2
	v_rcp_f32_e32 v4, v3
	v_div_scale_f32 v5, vcc, v2, v1, v2
	s_mov_b32 s6, 0x800000
	v_fma_f32 v6, -v3, v4, 1.0
	v_fmac_f32_e32 v4, v6, v4
	v_mul_f32_e32 v6, v5, v4
	v_fma_f32 v7, -v3, v6, v5
	v_fmac_f32_e32 v6, v7, v4
	v_fma_f32 v3, -v3, v6, v5
	v_div_fmas_f32 v3, v3, v4, v6
	v_div_fixup_f32 v1, v3, v1, v2
	s_waitcnt lgkmcnt(0)
	v_add_f32_e32 v1, s8, v1
	v_mul_f32_e32 v2, 0x4b800000, v1
	v_cmp_gt_f32_e32 vcc, s6, v1
	s_nop 1
	v_cndmask_b32_e32 v1, v1, v2, vcc
	v_rsq_f32_e32 v1, v1
	s_nop 0
	v_mul_f32_e32 v2, 0x45800000, v1
	v_cndmask_b32_e32 v1, v1, v2, vcc
	v_mov_b32_e32 v2, 0
	ds_write_b32 v2, v1 offset:64
.LBB5_26:
	s_or_b64 exec, exec, s[4:5]
	s_ashr_i32 s4, s3, 31
	s_lshr_b32 s4, s4, 28
	s_add_i32 s4, s3, s4
	s_ashr_i32 s19, s4, 4
	v_cmp_gt_i32_e32 vcc, s19, v0
	s_waitcnt lgkmcnt(0)
	s_barrier
	s_and_saveexec_b64 s[4:5], vcc
	s_cbranch_execz .LBB5_29
; %bb.27:
	s_load_dwordx4 s[12:15], s[0:1], 0x18
	s_load_dwordx2 s[16:17], s[0:1], 0x0
	s_mul_i32 s2, s2, s3
	v_mov_b32_e32 v3, 0
	ds_read_b32 v1, v3 offset:64
	s_waitcnt lgkmcnt(0)
	s_load_dword s3, s[14:15], 0x0
	s_lshl_b32 s20, s18, 4
	v_lshlrev_b32_e32 v2, 6, v0
	v_lshl_add_u32 v8, v0, 4, s2
	s_lshl_b32 s21, s18, 6
	s_waitcnt lgkmcnt(0)
	v_div_scale_f32 v4, s[0:1], s3, s3, 1.0
	v_rcp_f32_e32 v5, v4
	v_div_scale_f32 v6, vcc, 1.0, s3, 1.0
	s_mov_b64 s[14:15], 0
	v_fma_f32 v7, -v4, v5, 1.0
	v_fmac_f32_e32 v5, v7, v5
	v_mul_f32_e32 v7, v6, v5
	v_fma_f32 v9, -v4, v7, v6
	v_fmac_f32_e32 v7, v9, v5
	v_fma_f32 v4, -v4, v7, v6
	v_div_fmas_f32 v4, v4, v5, v7
	v_div_fixup_f32 v9, v4, s3, 1.0
	s_mov_b32 s22, 0x7f800000
	s_mov_b32 s23, 0x43700000
	v_mov_b32_e32 v10, 0xc3700000
.LBB5_28:                               ; =>This Inner Loop Header: Depth=1
	v_lshl_add_u64 v[6:7], s[10:11], 0, v[2:3]
	global_load_dwordx4 v[28:31], v[6:7], off
	global_load_dwordx4 v[32:35], v[6:7], off offset:16
	global_load_dwordx4 v[36:39], v[6:7], off offset:32
	;; [unrolled: 1-line block ×3, first 2 shown]
	v_lshl_add_u64 v[4:5], s[12:13], 0, v[2:3]
	s_add_u32 s12, s12, s21
	s_addc_u32 s13, s13, 0
	v_add_u32_e32 v0, s18, v0
	s_add_u32 s10, s10, s21
	v_cmp_le_i32_e32 vcc, s19, v0
	s_addc_u32 s11, s11, 0
	s_or_b64 s[14:15], vcc, s[14:15]
	v_mov_b32_e32 v11, 0
	v_mov_b32_e32 v12, 0
	;; [unrolled: 1-line block ×16, first 2 shown]
	v_add_u32_e32 v13, 1, v8
	v_add_u32_e32 v15, 2, v8
	;; [unrolled: 1-line block ×15, first 2 shown]
	s_waitcnt vmcnt(3)
	v_mul_f32_e32 v6, v28, v1
	v_mul_f32_e32 v7, v29, v1
	;; [unrolled: 1-line block ×4, first 2 shown]
	global_load_dwordx4 v[28:31], v[4:5], off
	s_waitcnt vmcnt(3)
	v_mul_f32_e32 v32, v32, v1
	v_mul_f32_e32 v33, v33, v1
	v_mul_f32_e32 v34, v34, v1
	v_mul_f32_e32 v35, v35, v1
	s_waitcnt vmcnt(2)
	v_mul_f32_e32 v36, v36, v1
	v_mul_f32_e32 v37, v37, v1
	v_mul_f32_e32 v38, v38, v1
	v_mul_f32_e32 v39, v39, v1
	;; [unrolled: 5-line block ×4, first 2 shown]
	global_load_dwordx4 v[28:31], v[4:5], off offset:16
	s_waitcnt vmcnt(0)
	v_mul_f32_e32 v32, v32, v28
	v_mul_f32_e32 v33, v33, v29
	v_mul_f32_e32 v34, v34, v30
	v_mul_f32_e32 v35, v35, v31
	global_load_dwordx4 v[28:31], v[4:5], off offset:32
	v_mul_f32_e32 v32, v9, v32
	global_load_dwordx4 v[4:7], v[4:5], off offset:48
	v_mul_f32_e32 v33, v9, v33
	v_mul_f32_e32 v34, v9, v34
	;; [unrolled: 1-line block ×3, first 2 shown]
	v_min_f32_e32 v32, 0x43600000, v32
	v_min_f32_e32 v33, 0x43600000, v33
	;; [unrolled: 1-line block ×4, first 2 shown]
	v_max_f32_e32 v32, 0xc3600000, v32
	v_max_f32_e32 v33, 0xc3600000, v33
	;; [unrolled: 1-line block ×4, first 2 shown]
	v_cmp_nlg_f32_e64 s[0:1], |v34|, s22
	v_cmp_nlg_f32_e64 s[2:3], |v35|, s22
	s_waitcnt vmcnt(1)
	v_mul_f32_e32 v28, v36, v28
	v_mul_f32_e32 v36, v9, v60
	;; [unrolled: 1-line block ×4, first 2 shown]
	v_min_f32_e32 v36, 0x43600000, v36
	v_mul_f32_e32 v30, v38, v30
	v_mul_f32_e32 v38, v9, v58
	v_min_f32_e32 v37, 0x43600000, v37
	v_max_f32_e32 v36, 0xc3600000, v36
	v_mul_f32_e32 v31, v39, v31
	s_waitcnt vmcnt(0)
	v_mul_f32_e32 v4, v40, v4
	v_mul_f32_e32 v39, v9, v59
	v_min_f32_e32 v38, 0x43600000, v38
	v_max_f32_e32 v37, 0xc3600000, v37
	v_med3_f32 v40, v36, s23, v10
	v_cmp_nlg_f32_e64 vcc, |v36|, s22
	v_mul_f32_e32 v5, v41, v5
	v_min_f32_e32 v39, 0x43600000, v39
	v_max_f32_e32 v38, 0xc3600000, v38
	v_med3_f32 v41, v37, s23, v10
	v_cndmask_b32_e32 v36, v40, v36, vcc
	v_cmp_nlg_f32_e64 vcc, |v37|, s22
	v_mul_f32_e32 v6, v42, v6
	v_mul_f32_e32 v7, v43, v7
	;; [unrolled: 1-line block ×4, first 2 shown]
	v_max_f32_e32 v39, 0xc3600000, v39
	v_med3_f32 v42, v38, s23, v10
	v_cndmask_b32_e32 v37, v41, v37, vcc
	v_cmp_nlg_f32_e64 vcc, |v38|, s22
	v_mul_f32_e32 v30, v9, v30
	v_mul_f32_e32 v31, v9, v31
	v_mul_f32_e32 v4, v9, v4
	v_mul_f32_e32 v5, v9, v5
	v_mul_f32_e32 v6, v9, v6
	v_mul_f32_e32 v7, v9, v7
	v_min_f32_e32 v28, 0x43600000, v28
	v_min_f32_e32 v29, 0x43600000, v29
	v_med3_f32 v43, v39, s23, v10
	v_cndmask_b32_e32 v38, v42, v38, vcc
	v_cmp_nlg_f32_e64 vcc, |v39|, s22
	v_min_f32_e32 v30, 0x43600000, v30
	v_min_f32_e32 v31, 0x43600000, v31
	;; [unrolled: 1-line block ×6, first 2 shown]
	v_max_f32_e32 v28, 0xc3600000, v28
	v_max_f32_e32 v29, 0xc3600000, v29
	v_med3_f32 v58, v32, s23, v10
	v_cndmask_b32_e32 v39, v43, v39, vcc
	v_cmp_nlg_f32_e64 vcc, |v32|, s22
	v_cvt_pk_fp8_f32 v11, v36, v36
	v_max_f32_e32 v30, 0xc3600000, v30
	v_max_f32_e32 v31, 0xc3600000, v31
	;; [unrolled: 1-line block ×6, first 2 shown]
	v_med3_f32 v59, v33, s23, v10
	v_med3_f32 v40, v34, s23, v10
	;; [unrolled: 1-line block ×5, first 2 shown]
	v_cndmask_b32_e32 v32, v58, v32, vcc
	v_cmp_nlg_f32_e64 vcc, |v33|, s22
	v_cmp_nlg_f32_e64 s[4:5], |v28|, s22
	v_cmp_nlg_f32_e64 s[6:7], |v29|, s22
	v_cvt_pk_fp8_f32 v12, v37, v37
	v_med3_f32 v58, v30, s23, v10
	v_cndmask_b32_e32 v33, v59, v33, vcc
	v_med3_f32 v59, v31, s23, v10
	v_cmp_nlg_f32_e64 vcc, |v31|, s22
	v_cndmask_b32_e64 v34, v40, v34, s[0:1]
	v_med3_f32 v40, v4, s23, v10
	v_cmp_nlg_f32_e64 s[0:1], |v4|, s22
	v_cndmask_b32_e64 v35, v41, v35, s[2:3]
	v_med3_f32 v41, v5, s23, v10
	v_cmp_nlg_f32_e64 s[2:3], |v5|, s22
	;; [unrolled: 3-line block ×4, first 2 shown]
	v_cmp_nlg_f32_e64 s[8:9], |v30|, s22
	v_cvt_pk_fp8_f32 v14, v38, v38
	v_cndmask_b32_e32 v31, v59, v31, vcc
	v_cndmask_b32_e64 v30, v58, v30, s[8:9]
	v_cndmask_b32_e64 v4, v40, v4, s[0:1]
	;; [unrolled: 1-line block ×5, first 2 shown]
	v_cvt_pk_fp8_f32 v16, v39, v39
	v_cvt_pk_fp8_f32 v18, v32, v32
	;; [unrolled: 1-line block ×13, first 2 shown]
	global_store_byte v8, v11, s[16:17]
	global_store_byte v13, v12, s[16:17]
	;; [unrolled: 1-line block ×16, first 2 shown]
	v_add_u32_e32 v8, s20, v8
	s_andn2_b64 exec, exec, s[14:15]
	s_cbranch_execnz .LBB5_28
.LBB5_29:
	s_endpgm
	.section	.rodata,"a",@progbits
	.p2align	6, 0x0
	.amdhsa_kernel _ZN4vllm32rms_norm_static_fp8_quant_kernelIfN3c1015Float8_e4m3fnuzELi16EEEvPT0_PKT_iS7_PKffii
		.amdhsa_group_segment_fixed_size 68
		.amdhsa_private_segment_fixed_size 0
		.amdhsa_kernarg_size 312
		.amdhsa_user_sgpr_count 2
		.amdhsa_user_sgpr_dispatch_ptr 0
		.amdhsa_user_sgpr_queue_ptr 0
		.amdhsa_user_sgpr_kernarg_segment_ptr 1
		.amdhsa_user_sgpr_dispatch_id 0
		.amdhsa_user_sgpr_kernarg_preload_length 0
		.amdhsa_user_sgpr_kernarg_preload_offset 0
		.amdhsa_user_sgpr_private_segment_size 0
		.amdhsa_uses_dynamic_stack 0
		.amdhsa_enable_private_segment 0
		.amdhsa_system_sgpr_workgroup_id_x 1
		.amdhsa_system_sgpr_workgroup_id_y 0
		.amdhsa_system_sgpr_workgroup_id_z 0
		.amdhsa_system_sgpr_workgroup_info 0
		.amdhsa_system_vgpr_workitem_id 0
		.amdhsa_next_free_vgpr 62
		.amdhsa_next_free_sgpr 24
		.amdhsa_accum_offset 64
		.amdhsa_reserve_vcc 1
		.amdhsa_float_round_mode_32 0
		.amdhsa_float_round_mode_16_64 0
		.amdhsa_float_denorm_mode_32 3
		.amdhsa_float_denorm_mode_16_64 3
		.amdhsa_dx10_clamp 1
		.amdhsa_ieee_mode 1
		.amdhsa_fp16_overflow 0
		.amdhsa_tg_split 0
		.amdhsa_exception_fp_ieee_invalid_op 0
		.amdhsa_exception_fp_denorm_src 0
		.amdhsa_exception_fp_ieee_div_zero 0
		.amdhsa_exception_fp_ieee_overflow 0
		.amdhsa_exception_fp_ieee_underflow 0
		.amdhsa_exception_fp_ieee_inexact 0
		.amdhsa_exception_int_div_zero 0
	.end_amdhsa_kernel
	.section	.text._ZN4vllm32rms_norm_static_fp8_quant_kernelIfN3c1015Float8_e4m3fnuzELi16EEEvPT0_PKT_iS7_PKffii,"axG",@progbits,_ZN4vllm32rms_norm_static_fp8_quant_kernelIfN3c1015Float8_e4m3fnuzELi16EEEvPT0_PKT_iS7_PKffii,comdat
.Lfunc_end5:
	.size	_ZN4vllm32rms_norm_static_fp8_quant_kernelIfN3c1015Float8_e4m3fnuzELi16EEEvPT0_PKT_iS7_PKffii, .Lfunc_end5-_ZN4vllm32rms_norm_static_fp8_quant_kernelIfN3c1015Float8_e4m3fnuzELi16EEEvPT0_PKT_iS7_PKffii
                                        ; -- End function
	.section	.AMDGPU.csdata,"",@progbits
; Kernel info:
; codeLenInByte = 3188
; NumSgprs: 30
; NumVgprs: 62
; NumAgprs: 0
; TotalNumVgprs: 62
; ScratchSize: 0
; MemoryBound: 0
; FloatMode: 240
; IeeeMode: 1
; LDSByteSize: 68 bytes/workgroup (compile time only)
; SGPRBlocks: 3
; VGPRBlocks: 7
; NumSGPRsForWavesPerEU: 30
; NumVGPRsForWavesPerEU: 62
; AccumOffset: 64
; Occupancy: 8
; WaveLimiterHint : 0
; COMPUTE_PGM_RSRC2:SCRATCH_EN: 0
; COMPUTE_PGM_RSRC2:USER_SGPR: 2
; COMPUTE_PGM_RSRC2:TRAP_HANDLER: 0
; COMPUTE_PGM_RSRC2:TGID_X_EN: 1
; COMPUTE_PGM_RSRC2:TGID_Y_EN: 0
; COMPUTE_PGM_RSRC2:TGID_Z_EN: 0
; COMPUTE_PGM_RSRC2:TIDIG_COMP_CNT: 0
; COMPUTE_PGM_RSRC3_GFX90A:ACCUM_OFFSET: 15
; COMPUTE_PGM_RSRC3_GFX90A:TG_SPLIT: 0
	.section	.text._ZN4vllm32rms_norm_static_fp8_quant_kernelIfN3c1015Float8_e4m3fnuzELi8EEEvPT0_PKT_iS7_PKffii,"axG",@progbits,_ZN4vllm32rms_norm_static_fp8_quant_kernelIfN3c1015Float8_e4m3fnuzELi8EEEvPT0_PKT_iS7_PKffii,comdat
	.protected	_ZN4vllm32rms_norm_static_fp8_quant_kernelIfN3c1015Float8_e4m3fnuzELi8EEEvPT0_PKT_iS7_PKffii ; -- Begin function _ZN4vllm32rms_norm_static_fp8_quant_kernelIfN3c1015Float8_e4m3fnuzELi8EEEvPT0_PKT_iS7_PKffii
	.globl	_ZN4vllm32rms_norm_static_fp8_quant_kernelIfN3c1015Float8_e4m3fnuzELi8EEEvPT0_PKT_iS7_PKffii
	.p2align	8
	.type	_ZN4vllm32rms_norm_static_fp8_quant_kernelIfN3c1015Float8_e4m3fnuzELi8EEEvPT0_PKT_iS7_PKffii,@function
_ZN4vllm32rms_norm_static_fp8_quant_kernelIfN3c1015Float8_e4m3fnuzELi8EEEvPT0_PKT_iS7_PKffii: ; @_ZN4vllm32rms_norm_static_fp8_quant_kernelIfN3c1015Float8_e4m3fnuzELi8EEEvPT0_PKT_iS7_PKffii
; %bb.0:
	s_load_dword s6, s[0:1], 0x10
	s_load_dwordx2 s[4:5], s[0:1], 0x8
	s_load_dword s3, s[0:1], 0x30
	s_load_dword s10, s[0:1], 0x44
	s_mov_b32 s9, 0
	s_waitcnt lgkmcnt(0)
	s_mul_i32 s8, s2, s6
	s_lshl_b64 s[6:7], s[8:9], 2
	s_add_u32 s14, s4, s6
	s_addc_u32 s15, s5, s7
	s_and_b32 s22, s10, 0xffff
	s_and_b32 s8, s14, 31
	s_cmp_lg_u64 s[8:9], 0
	s_cselect_b64 s[8:9], -1, 0
	s_and_b32 s10, s3, 7
	s_cmp_lg_u32 s10, 0
	s_cselect_b64 s[10:11], -1, 0
	s_or_b64 s[8:9], s[8:9], s[10:11]
	s_and_b64 vcc, exec, s[8:9]
	s_cbranch_vccz .LBB6_14
; %bb.1:
	s_sub_i32 s8, 0, s14
	s_bfe_u32 s8, s8, 0x30002
	s_min_i32 s8, s8, s3
	v_cmp_gt_i32_e32 vcc, s8, v0
	v_mov_b32_e32 v3, 0
	s_and_saveexec_b64 s[10:11], vcc
	s_cbranch_execz .LBB6_5
; %bb.2:
	s_add_u32 s16, s4, s6
	v_lshlrev_b32_e32 v2, 2, v0
	v_mov_b32_e32 v3, 0
	s_addc_u32 s17, s5, s7
	s_mov_b32 s13, 0
	v_lshl_add_u64 v[4:5], s[16:17], 0, v[2:3]
	s_lshl_b32 s12, s22, 2
	s_mov_b64 s[16:17], 0
	v_mov_b32_e32 v1, v0
.LBB6_3:                                ; =>This Inner Loop Header: Depth=1
	global_load_dword v2, v[4:5], off
	v_add_u32_e32 v1, s22, v1
	v_cmp_le_i32_e32 vcc, s8, v1
	v_lshl_add_u64 v[4:5], v[4:5], 0, s[12:13]
	s_or_b64 s[16:17], vcc, s[16:17]
	s_waitcnt vmcnt(0)
	v_fmac_f32_e32 v3, v2, v2
	s_andn2_b64 exec, exec, s[16:17]
	s_cbranch_execnz .LBB6_3
; %bb.4:
	s_or_b64 exec, exec, s[16:17]
.LBB6_5:
	s_or_b64 exec, exec, s[10:11]
	s_sub_i32 s18, s3, s8
	s_ashr_i32 s10, s18, 31
	s_lshr_b32 s10, s10, 29
	s_add_i32 s10, s18, s10
	s_ashr_i32 s19, s10, 3
	s_ashr_i32 s9, s8, 31
	v_cmp_gt_i32_e32 vcc, s19, v0
	s_and_saveexec_b64 s[10:11], vcc
	s_cbranch_execz .LBB6_9
; %bb.6:
	s_lshl_b64 s[16:17], s[8:9], 2
	s_add_u32 s12, s4, s6
	s_addc_u32 s20, s5, s7
	s_add_u32 s16, s12, s16
	v_lshlrev_b32_e32 v4, 5, v0
	v_mov_b32_e32 v5, 0
	s_addc_u32 s17, s20, s17
	s_mov_b32 s13, 0
	v_lshl_add_u64 v[4:5], s[16:17], 0, v[4:5]
	s_lshl_b32 s12, s22, 5
	s_mov_b64 s[16:17], 0
	v_mov_b32_e32 v1, v0
.LBB6_7:                                ; =>This Inner Loop Header: Depth=1
	global_load_dwordx4 v[6:9], v[4:5], off
	global_load_dwordx4 v[10:13], v[4:5], off offset:16
	v_add_u32_e32 v1, s22, v1
	v_cmp_le_i32_e32 vcc, s19, v1
	v_lshl_add_u64 v[4:5], v[4:5], 0, s[12:13]
	s_or_b64 s[16:17], vcc, s[16:17]
	s_waitcnt vmcnt(1)
	v_fmac_f32_e32 v3, v6, v6
	v_fmac_f32_e32 v3, v7, v7
	;; [unrolled: 1-line block ×4, first 2 shown]
	s_waitcnt vmcnt(0)
	v_fmac_f32_e32 v3, v10, v10
	v_fmac_f32_e32 v3, v11, v11
	;; [unrolled: 1-line block ×4, first 2 shown]
	s_andn2_b64 exec, exec, s[16:17]
	s_cbranch_execnz .LBB6_7
; %bb.8:
	s_or_b64 exec, exec, s[16:17]
.LBB6_9:
	s_or_b64 exec, exec, s[10:11]
	v_lshl_add_u32 v4, s19, 3, v0
	v_cmp_gt_i32_e32 vcc, s18, v4
	s_and_saveexec_b64 s[10:11], vcc
	s_cbranch_execz .LBB6_13
; %bb.10:
	s_lshl_b64 s[8:9], s[8:9], 2
	s_add_u32 s12, s4, s6
	s_addc_u32 s13, s5, s7
	s_add_u32 s8, s12, s8
	v_ashrrev_i32_e32 v5, 31, v4
	s_addc_u32 s9, s13, s9
	v_lshl_add_u64 v[6:7], v[4:5], 2, s[8:9]
	s_lshl_b32 s8, s22, 2
	s_mov_b32 s9, 0
	s_mov_b64 s[12:13], 0
.LBB6_11:                               ; =>This Inner Loop Header: Depth=1
	global_load_dword v1, v[6:7], off
	v_add_u32_e32 v4, s22, v4
	v_cmp_le_i32_e32 vcc, s18, v4
	v_lshl_add_u64 v[6:7], v[6:7], 0, s[8:9]
	s_or_b64 s[12:13], vcc, s[12:13]
	s_waitcnt vmcnt(0)
	v_fmac_f32_e32 v3, v1, v1
	s_andn2_b64 exec, exec, s[12:13]
	s_cbranch_execnz .LBB6_11
; %bb.12:
	s_or_b64 exec, exec, s[12:13]
.LBB6_13:
	s_or_b64 exec, exec, s[10:11]
	s_branch .LBB6_20
.LBB6_14:
                                        ; implicit-def: $vgpr3
	s_cbranch_execz .LBB6_20
; %bb.15:
	s_ashr_i32 s12, s3, 3
	v_cmp_gt_i32_e32 vcc, s12, v0
	v_mov_b32_e32 v3, 0
	s_and_saveexec_b64 s[8:9], vcc
	s_cbranch_execz .LBB6_19
; %bb.16:
	s_add_u32 s4, s4, s6
	v_lshlrev_b32_e32 v2, 5, v0
	v_mov_b32_e32 v3, 0
	s_addc_u32 s5, s5, s7
	s_mov_b32 s11, 0
	v_lshl_add_u64 v[4:5], s[4:5], 0, v[2:3]
	s_lshl_b32 s10, s22, 5
	s_mov_b64 s[4:5], 0
	v_mov_b32_e32 v1, v0
.LBB6_17:                               ; =>This Inner Loop Header: Depth=1
	global_load_dwordx4 v[6:9], v[4:5], off
	global_load_dwordx4 v[10:13], v[4:5], off offset:16
	v_add_u32_e32 v1, s22, v1
	v_cmp_le_i32_e32 vcc, s12, v1
	v_lshl_add_u64 v[4:5], v[4:5], 0, s[10:11]
	s_or_b64 s[4:5], vcc, s[4:5]
	s_waitcnt vmcnt(1)
	v_fmac_f32_e32 v3, v6, v6
	v_fmac_f32_e32 v3, v7, v7
	;; [unrolled: 1-line block ×4, first 2 shown]
	s_waitcnt vmcnt(0)
	v_fmac_f32_e32 v3, v10, v10
	v_fmac_f32_e32 v3, v11, v11
	;; [unrolled: 1-line block ×4, first 2 shown]
	s_andn2_b64 exec, exec, s[4:5]
	s_cbranch_execnz .LBB6_17
; %bb.18:
	s_or_b64 exec, exec, s[4:5]
.LBB6_19:
	s_or_b64 exec, exec, s[8:9]
.LBB6_20:
	v_mbcnt_lo_u32_b32 v1, -1, 0
	v_mbcnt_hi_u32_b32 v1, -1, v1
	v_and_b32_e32 v2, 63, v1
	v_cmp_ne_u32_e32 vcc, 63, v2
	v_and_b32_e32 v5, 0x3c0, v0
	v_sub_u32_e64 v5, s22, v5 clamp
	v_addc_co_u32_e32 v4, vcc, 0, v1, vcc
	v_lshlrev_b32_e32 v4, 2, v4
	ds_bpermute_b32 v4, v4, v3
	v_add_u32_e32 v6, 1, v1
	v_cmp_lt_u32_e32 vcc, v6, v5
	v_add_u32_e32 v6, 2, v1
	s_waitcnt lgkmcnt(0)
	v_add_f32_e32 v4, v3, v4
	v_cndmask_b32_e32 v3, v3, v4, vcc
	v_cmp_gt_u32_e32 vcc, 62, v2
	s_nop 1
	v_cndmask_b32_e64 v4, 0, 1, vcc
	v_lshlrev_b32_e32 v4, 1, v4
	v_add_lshl_u32 v4, v4, v1, 2
	ds_bpermute_b32 v4, v4, v3
	v_cmp_lt_u32_e32 vcc, v6, v5
	v_add_u32_e32 v6, 4, v1
	s_waitcnt lgkmcnt(0)
	v_add_f32_e32 v4, v3, v4
	v_cndmask_b32_e32 v3, v3, v4, vcc
	v_cmp_gt_u32_e32 vcc, 60, v2
	s_nop 1
	v_cndmask_b32_e64 v4, 0, 1, vcc
	v_lshlrev_b32_e32 v4, 2, v4
	v_add_lshl_u32 v4, v4, v1, 2
	ds_bpermute_b32 v4, v4, v3
	;; [unrolled: 11-line block ×4, first 2 shown]
	v_cmp_lt_u32_e32 vcc, v6, v5
	s_waitcnt lgkmcnt(0)
	v_add_f32_e32 v4, v3, v4
	v_cndmask_b32_e32 v3, v3, v4, vcc
	v_cmp_gt_u32_e32 vcc, 32, v2
	v_add_u32_e32 v4, 32, v1
	s_nop 0
	v_cndmask_b32_e64 v2, 0, 1, vcc
	v_lshlrev_b32_e32 v2, 5, v2
	v_add_lshl_u32 v2, v2, v1, 2
	ds_bpermute_b32 v2, v2, v3
	v_cmp_lt_u32_e32 vcc, v4, v5
	s_waitcnt lgkmcnt(0)
	v_add_f32_e32 v2, v3, v2
	v_cndmask_b32_e32 v2, v3, v2, vcc
	v_cmp_eq_u32_e32 vcc, 0, v1
	s_and_saveexec_b64 s[4:5], vcc
	s_cbranch_execz .LBB6_22
; %bb.21:
	v_lshrrev_b32_e32 v3, 4, v0
	v_and_b32_e32 v3, 60, v3
	ds_write_b32 v3, v2
.LBB6_22:
	s_or_b64 exec, exec, s[4:5]
	v_cmp_gt_u32_e32 vcc, 16, v0
	s_waitcnt lgkmcnt(0)
	s_barrier
	s_and_saveexec_b64 s[6:7], vcc
	s_cbranch_execz .LBB6_24
; %bb.23:
	v_lshlrev_b32_e32 v2, 2, v1
	ds_read_b32 v2, v2
	v_and_b32_e32 v3, 15, v1
	v_cmp_ne_u32_e32 vcc, 15, v3
	s_add_i32 s4, s22, 63
	s_lshr_b32 s8, s4, 6
	v_addc_co_u32_e32 v4, vcc, 0, v1, vcc
	v_lshlrev_b32_e32 v4, 2, v4
	s_waitcnt lgkmcnt(0)
	ds_bpermute_b32 v4, v4, v2
	v_add_u32_e32 v5, 1, v3
	v_cmp_gt_u32_e64 s[4:5], 14, v3
	v_cmp_gt_u32_e32 vcc, s8, v5
	v_add_u32_e32 v6, 2, v3
	v_cndmask_b32_e64 v5, 0, 1, s[4:5]
	s_waitcnt lgkmcnt(0)
	v_add_f32_e32 v4, v2, v4
	v_lshlrev_b32_e32 v5, 1, v5
	v_cndmask_b32_e32 v4, v2, v4, vcc
	v_add_lshl_u32 v5, v5, v1, 2
	ds_bpermute_b32 v5, v5, v4
	v_cmp_gt_u32_e64 s[4:5], s8, v6
	v_add_u32_e32 v6, 4, v3
	s_waitcnt lgkmcnt(0)
	v_add_f32_e32 v5, v4, v5
	v_cndmask_b32_e64 v4, v4, v5, s[4:5]
	v_cmp_gt_u32_e64 s[4:5], 12, v3
	s_nop 1
	v_cndmask_b32_e64 v5, 0, 1, s[4:5]
	v_lshlrev_b32_e32 v5, 2, v5
	v_add_lshl_u32 v5, v5, v1, 2
	ds_bpermute_b32 v5, v5, v4
	v_cmp_gt_u32_e64 s[4:5], s8, v6
	s_waitcnt lgkmcnt(0)
	v_add_f32_e32 v5, v4, v5
	v_cndmask_b32_e64 v4, v4, v5, s[4:5]
	v_cmp_gt_u32_e64 s[4:5], 8, v3
	v_add_u32_e32 v3, 8, v3
	s_nop 0
	v_cndmask_b32_e64 v5, 0, 1, s[4:5]
	v_lshlrev_b32_e32 v5, 3, v5
	v_add_lshl_u32 v1, v5, v1, 2
	ds_bpermute_b32 v1, v1, v4
	v_cmp_gt_u32_e64 s[4:5], s8, v3
	s_waitcnt lgkmcnt(0)
	v_add_f32_e32 v1, v4, v1
	v_cndmask_b32_e64 v1, v4, v1, s[4:5]
	v_cndmask_b32_e32 v2, v2, v1, vcc
.LBB6_24:
	s_or_b64 exec, exec, s[6:7]
	v_cmp_eq_u32_e32 vcc, 0, v0
	s_and_saveexec_b64 s[4:5], vcc
	s_cbranch_execz .LBB6_26
; %bb.25:
	v_cvt_f32_i32_e32 v1, s3
	s_load_dword s8, s[0:1], 0x28
	v_div_scale_f32 v3, s[6:7], v1, v1, v2
	v_rcp_f32_e32 v4, v3
	v_div_scale_f32 v5, vcc, v2, v1, v2
	s_mov_b32 s6, 0x800000
	v_fma_f32 v6, -v3, v4, 1.0
	v_fmac_f32_e32 v4, v6, v4
	v_mul_f32_e32 v6, v5, v4
	v_fma_f32 v7, -v3, v6, v5
	v_fmac_f32_e32 v6, v7, v4
	v_fma_f32 v3, -v3, v6, v5
	v_div_fmas_f32 v3, v3, v4, v6
	v_div_fixup_f32 v1, v3, v1, v2
	s_waitcnt lgkmcnt(0)
	v_add_f32_e32 v1, s8, v1
	v_mul_f32_e32 v2, 0x4b800000, v1
	v_cmp_gt_f32_e32 vcc, s6, v1
	s_nop 1
	v_cndmask_b32_e32 v1, v1, v2, vcc
	v_rsq_f32_e32 v1, v1
	s_nop 0
	v_mul_f32_e32 v2, 0x45800000, v1
	v_cndmask_b32_e32 v1, v1, v2, vcc
	v_mov_b32_e32 v2, 0
	ds_write_b32 v2, v1 offset:64
.LBB6_26:
	s_or_b64 exec, exec, s[4:5]
	s_ashr_i32 s4, s3, 31
	s_lshr_b32 s4, s4, 29
	s_add_i32 s4, s3, s4
	s_ashr_i32 s23, s4, 3
	v_cmp_gt_i32_e32 vcc, s23, v0
	s_waitcnt lgkmcnt(0)
	s_barrier
	s_and_saveexec_b64 s[4:5], vcc
	s_cbranch_execz .LBB6_29
; %bb.27:
	s_load_dwordx4 s[16:19], s[0:1], 0x18
	s_load_dwordx2 s[20:21], s[0:1], 0x0
	s_mul_i32 s2, s2, s3
	v_mov_b32_e32 v3, 0
	ds_read_b32 v1, v3 offset:64
	s_waitcnt lgkmcnt(0)
	s_load_dword s3, s[18:19], 0x0
	s_lshl_b32 s24, s22, 3
	v_lshlrev_b32_e32 v2, 5, v0
	v_lshl_add_u32 v4, v0, 3, s2
	s_lshl_b32 s25, s22, 5
	s_waitcnt lgkmcnt(0)
	v_div_scale_f32 v5, s[0:1], s3, s3, 1.0
	v_rcp_f32_e32 v6, v5
	v_div_scale_f32 v7, vcc, 1.0, s3, 1.0
	s_mov_b64 s[18:19], 0
	v_fma_f32 v8, -v5, v6, 1.0
	v_fmac_f32_e32 v6, v8, v6
	v_mul_f32_e32 v8, v7, v6
	v_fma_f32 v9, -v5, v8, v7
	v_fmac_f32_e32 v8, v9, v6
	v_fma_f32 v5, -v5, v8, v7
	v_div_fmas_f32 v5, v5, v6, v8
	v_div_fixup_f32 v5, v5, s3, 1.0
	s_mov_b32 s26, 0x7f800000
	s_mov_b32 s27, 0x43700000
	v_mov_b32_e32 v6, 0xc3700000
.LBB6_28:                               ; =>This Inner Loop Header: Depth=1
	v_lshl_add_u64 v[24:25], s[14:15], 0, v[2:3]
	v_lshl_add_u64 v[26:27], s[16:17], 0, v[2:3]
	global_load_dwordx4 v[8:11], v[24:25], off
	global_load_dwordx4 v[12:15], v[24:25], off offset:16
	global_load_dwordx4 v[16:19], v[26:27], off
	global_load_dwordx4 v[20:23], v[26:27], off offset:16
	s_add_u32 s16, s16, s25
	s_addc_u32 s17, s17, 0
	v_add_u32_e32 v0, s22, v0
	s_add_u32 s14, s14, s25
	v_cmp_le_i32_e32 vcc, s23, v0
	s_addc_u32 s15, s15, 0
	v_mov_b32_e32 v7, 0
	s_or_b64 s[18:19], vcc, s[18:19]
	v_mov_b32_e32 v28, 0
	v_mov_b32_e32 v30, 0
	;; [unrolled: 1-line block ×7, first 2 shown]
	v_add_u32_e32 v29, 1, v4
	v_add_u32_e32 v31, 2, v4
	;; [unrolled: 1-line block ×7, first 2 shown]
	s_waitcnt vmcnt(3)
	v_mul_f32_e32 v8, v8, v1
	v_mul_f32_e32 v9, v9, v1
	s_waitcnt vmcnt(1)
	v_mul_f32_e32 v8, v8, v16
	v_mul_f32_e32 v10, v10, v1
	v_mul_f32_e32 v9, v9, v17
	v_mul_f32_e32 v8, v5, v8
	v_mul_f32_e32 v11, v11, v1
	v_mul_f32_e32 v10, v10, v18
	v_mul_f32_e32 v9, v5, v9
	v_min_f32_e32 v8, 0x43600000, v8
	v_mul_f32_e32 v12, v12, v1
	v_mul_f32_e32 v13, v13, v1
	;; [unrolled: 1-line block ×6, first 2 shown]
	v_min_f32_e32 v9, 0x43600000, v9
	v_max_f32_e32 v8, 0xc3600000, v8
	s_waitcnt vmcnt(0)
	v_mul_f32_e32 v12, v12, v20
	v_mul_f32_e32 v13, v13, v21
	;; [unrolled: 1-line block ×5, first 2 shown]
	v_min_f32_e32 v10, 0x43600000, v10
	v_max_f32_e32 v9, 0xc3600000, v9
	v_med3_f32 v16, v8, s27, v6
	v_cmp_nlg_f32_e64 s[12:13], |v8|, s26
	v_mul_f32_e32 v12, v5, v12
	v_mul_f32_e32 v13, v5, v13
	;; [unrolled: 1-line block ×4, first 2 shown]
	v_min_f32_e32 v11, 0x43600000, v11
	v_max_f32_e32 v10, 0xc3600000, v10
	v_med3_f32 v17, v9, s27, v6
	v_cmp_nlg_f32_e64 vcc, |v9|, s26
	v_cndmask_b32_e64 v8, v16, v8, s[12:13]
	v_min_f32_e32 v12, 0x43600000, v12
	v_min_f32_e32 v13, 0x43600000, v13
	;; [unrolled: 1-line block ×4, first 2 shown]
	v_max_f32_e32 v11, 0xc3600000, v11
	v_med3_f32 v18, v10, s27, v6
	v_cmp_nlg_f32_e64 s[0:1], |v10|, s26
	v_cndmask_b32_e32 v9, v17, v9, vcc
	v_cvt_pk_fp8_f32 v7, v8, v8
	v_max_f32_e32 v12, 0xc3600000, v12
	v_max_f32_e32 v13, 0xc3600000, v13
	v_max_f32_e32 v14, 0xc3600000, v14
	v_max_f32_e32 v15, 0xc3600000, v15
	v_med3_f32 v19, v11, s27, v6
	v_cmp_nlg_f32_e64 s[2:3], |v11|, s26
	v_cndmask_b32_e64 v10, v18, v10, s[0:1]
	v_cvt_pk_fp8_f32 v28, v9, v9
	v_med3_f32 v20, v12, s27, v6
	v_cmp_nlg_f32_e64 s[4:5], |v12|, s26
	v_med3_f32 v21, v13, s27, v6
	v_cmp_nlg_f32_e64 s[6:7], |v13|, s26
	;; [unrolled: 2-line block ×4, first 2 shown]
	v_cndmask_b32_e64 v11, v19, v11, s[2:3]
	v_cvt_pk_fp8_f32 v30, v10, v10
	v_cndmask_b32_e64 v12, v20, v12, s[4:5]
	v_cndmask_b32_e64 v13, v21, v13, s[6:7]
	;; [unrolled: 1-line block ×4, first 2 shown]
	v_cvt_pk_fp8_f32 v32, v11, v11
	v_cvt_pk_fp8_f32 v34, v12, v12
	;; [unrolled: 1-line block ×5, first 2 shown]
	global_store_byte v4, v7, s[20:21]
	global_store_byte v29, v28, s[20:21]
	global_store_byte v31, v30, s[20:21]
	global_store_byte v33, v32, s[20:21]
	global_store_byte v35, v34, s[20:21]
	global_store_byte v37, v36, s[20:21]
	global_store_byte v39, v38, s[20:21]
	global_store_byte v25, v24, s[20:21]
	v_add_u32_e32 v4, s24, v4
	s_andn2_b64 exec, exec, s[18:19]
	s_cbranch_execnz .LBB6_28
.LBB6_29:
	s_endpgm
	.section	.rodata,"a",@progbits
	.p2align	6, 0x0
	.amdhsa_kernel _ZN4vllm32rms_norm_static_fp8_quant_kernelIfN3c1015Float8_e4m3fnuzELi8EEEvPT0_PKT_iS7_PKffii
		.amdhsa_group_segment_fixed_size 68
		.amdhsa_private_segment_fixed_size 0
		.amdhsa_kernarg_size 312
		.amdhsa_user_sgpr_count 2
		.amdhsa_user_sgpr_dispatch_ptr 0
		.amdhsa_user_sgpr_queue_ptr 0
		.amdhsa_user_sgpr_kernarg_segment_ptr 1
		.amdhsa_user_sgpr_dispatch_id 0
		.amdhsa_user_sgpr_kernarg_preload_length 0
		.amdhsa_user_sgpr_kernarg_preload_offset 0
		.amdhsa_user_sgpr_private_segment_size 0
		.amdhsa_uses_dynamic_stack 0
		.amdhsa_enable_private_segment 0
		.amdhsa_system_sgpr_workgroup_id_x 1
		.amdhsa_system_sgpr_workgroup_id_y 0
		.amdhsa_system_sgpr_workgroup_id_z 0
		.amdhsa_system_sgpr_workgroup_info 0
		.amdhsa_system_vgpr_workitem_id 0
		.amdhsa_next_free_vgpr 40
		.amdhsa_next_free_sgpr 28
		.amdhsa_accum_offset 40
		.amdhsa_reserve_vcc 1
		.amdhsa_float_round_mode_32 0
		.amdhsa_float_round_mode_16_64 0
		.amdhsa_float_denorm_mode_32 3
		.amdhsa_float_denorm_mode_16_64 3
		.amdhsa_dx10_clamp 1
		.amdhsa_ieee_mode 1
		.amdhsa_fp16_overflow 0
		.amdhsa_tg_split 0
		.amdhsa_exception_fp_ieee_invalid_op 0
		.amdhsa_exception_fp_denorm_src 0
		.amdhsa_exception_fp_ieee_div_zero 0
		.amdhsa_exception_fp_ieee_overflow 0
		.amdhsa_exception_fp_ieee_underflow 0
		.amdhsa_exception_fp_ieee_inexact 0
		.amdhsa_exception_int_div_zero 0
	.end_amdhsa_kernel
	.section	.text._ZN4vllm32rms_norm_static_fp8_quant_kernelIfN3c1015Float8_e4m3fnuzELi8EEEvPT0_PKT_iS7_PKffii,"axG",@progbits,_ZN4vllm32rms_norm_static_fp8_quant_kernelIfN3c1015Float8_e4m3fnuzELi8EEEvPT0_PKT_iS7_PKffii,comdat
.Lfunc_end6:
	.size	_ZN4vllm32rms_norm_static_fp8_quant_kernelIfN3c1015Float8_e4m3fnuzELi8EEEvPT0_PKT_iS7_PKffii, .Lfunc_end6-_ZN4vllm32rms_norm_static_fp8_quant_kernelIfN3c1015Float8_e4m3fnuzELi8EEEvPT0_PKT_iS7_PKffii
                                        ; -- End function
	.section	.AMDGPU.csdata,"",@progbits
; Kernel info:
; codeLenInByte = 2440
; NumSgprs: 34
; NumVgprs: 40
; NumAgprs: 0
; TotalNumVgprs: 40
; ScratchSize: 0
; MemoryBound: 0
; FloatMode: 240
; IeeeMode: 1
; LDSByteSize: 68 bytes/workgroup (compile time only)
; SGPRBlocks: 4
; VGPRBlocks: 4
; NumSGPRsForWavesPerEU: 34
; NumVGPRsForWavesPerEU: 40
; AccumOffset: 40
; Occupancy: 8
; WaveLimiterHint : 0
; COMPUTE_PGM_RSRC2:SCRATCH_EN: 0
; COMPUTE_PGM_RSRC2:USER_SGPR: 2
; COMPUTE_PGM_RSRC2:TRAP_HANDLER: 0
; COMPUTE_PGM_RSRC2:TGID_X_EN: 1
; COMPUTE_PGM_RSRC2:TGID_Y_EN: 0
; COMPUTE_PGM_RSRC2:TGID_Z_EN: 0
; COMPUTE_PGM_RSRC2:TIDIG_COMP_CNT: 0
; COMPUTE_PGM_RSRC3_GFX90A:ACCUM_OFFSET: 9
; COMPUTE_PGM_RSRC3_GFX90A:TG_SPLIT: 0
	.section	.text._ZN4vllm32rms_norm_static_fp8_quant_kernelIfN3c1015Float8_e4m3fnuzELi4EEEvPT0_PKT_iS7_PKffii,"axG",@progbits,_ZN4vllm32rms_norm_static_fp8_quant_kernelIfN3c1015Float8_e4m3fnuzELi4EEEvPT0_PKT_iS7_PKffii,comdat
	.protected	_ZN4vllm32rms_norm_static_fp8_quant_kernelIfN3c1015Float8_e4m3fnuzELi4EEEvPT0_PKT_iS7_PKffii ; -- Begin function _ZN4vllm32rms_norm_static_fp8_quant_kernelIfN3c1015Float8_e4m3fnuzELi4EEEvPT0_PKT_iS7_PKffii
	.globl	_ZN4vllm32rms_norm_static_fp8_quant_kernelIfN3c1015Float8_e4m3fnuzELi4EEEvPT0_PKT_iS7_PKffii
	.p2align	8
	.type	_ZN4vllm32rms_norm_static_fp8_quant_kernelIfN3c1015Float8_e4m3fnuzELi4EEEvPT0_PKT_iS7_PKffii,@function
_ZN4vllm32rms_norm_static_fp8_quant_kernelIfN3c1015Float8_e4m3fnuzELi4EEEvPT0_PKT_iS7_PKffii: ; @_ZN4vllm32rms_norm_static_fp8_quant_kernelIfN3c1015Float8_e4m3fnuzELi4EEEvPT0_PKT_iS7_PKffii
; %bb.0:
	s_load_dword s6, s[0:1], 0x10
	s_load_dwordx2 s[4:5], s[0:1], 0x8
	s_load_dword s3, s[0:1], 0x30
	s_load_dword s12, s[0:1], 0x44
	s_mov_b32 s11, 0
	s_waitcnt lgkmcnt(0)
	s_mul_i32 s10, s2, s6
	s_lshl_b64 s[8:9], s[10:11], 2
	s_add_u32 s6, s4, s8
	s_addc_u32 s7, s5, s9
	s_and_b32 s18, s12, 0xffff
	s_and_b32 s10, s6, 15
	s_cmp_lg_u64 s[10:11], 0
	s_cselect_b64 s[10:11], -1, 0
	s_and_b32 s12, s3, 3
	s_cmp_lg_u32 s12, 0
	s_cselect_b64 s[12:13], -1, 0
	s_or_b64 s[10:11], s[10:11], s[12:13]
	s_and_b64 vcc, exec, s[10:11]
	s_cbranch_vccz .LBB7_14
; %bb.1:
	s_sub_i32 s10, 0, s6
	s_bfe_u32 s10, s10, 0x20002
	s_min_i32 s10, s10, s3
	v_cmp_gt_i32_e32 vcc, s10, v0
	v_mov_b32_e32 v3, 0
	s_and_saveexec_b64 s[12:13], vcc
	s_cbranch_execz .LBB7_5
; %bb.2:
	s_add_u32 s16, s4, s8
	v_lshlrev_b32_e32 v2, 2, v0
	v_mov_b32_e32 v3, 0
	s_addc_u32 s17, s5, s9
	s_mov_b32 s15, 0
	v_lshl_add_u64 v[4:5], s[16:17], 0, v[2:3]
	s_lshl_b32 s14, s18, 2
	s_mov_b64 s[16:17], 0
	v_mov_b32_e32 v1, v0
.LBB7_3:                                ; =>This Inner Loop Header: Depth=1
	global_load_dword v2, v[4:5], off
	v_add_u32_e32 v1, s18, v1
	v_cmp_le_i32_e32 vcc, s10, v1
	v_lshl_add_u64 v[4:5], v[4:5], 0, s[14:15]
	s_or_b64 s[16:17], vcc, s[16:17]
	s_waitcnt vmcnt(0)
	v_fmac_f32_e32 v3, v2, v2
	s_andn2_b64 exec, exec, s[16:17]
	s_cbranch_execnz .LBB7_3
; %bb.4:
	s_or_b64 exec, exec, s[16:17]
.LBB7_5:
	s_or_b64 exec, exec, s[12:13]
	s_sub_i32 s19, s3, s10
	s_ashr_i32 s12, s19, 31
	s_lshr_b32 s12, s12, 30
	s_add_i32 s12, s19, s12
	s_ashr_i32 s20, s12, 2
	s_ashr_i32 s11, s10, 31
	v_cmp_gt_i32_e32 vcc, s20, v0
	s_and_saveexec_b64 s[12:13], vcc
	s_cbranch_execz .LBB7_9
; %bb.6:
	s_lshl_b64 s[16:17], s[10:11], 2
	s_add_u32 s14, s4, s8
	s_addc_u32 s21, s5, s9
	s_add_u32 s16, s14, s16
	v_lshlrev_b32_e32 v4, 4, v0
	v_mov_b32_e32 v5, 0
	s_addc_u32 s17, s21, s17
	v_lshl_add_u64 v[4:5], s[16:17], 0, v[4:5]
	s_mov_b32 s15, 0
	v_lshl_add_u64 v[4:5], v[4:5], 0, 8
	s_lshl_b32 s14, s18, 4
	s_mov_b64 s[16:17], 0
	v_mov_b32_e32 v1, v0
.LBB7_7:                                ; =>This Inner Loop Header: Depth=1
	global_load_dwordx4 v[6:9], v[4:5], off offset:-8
	v_add_u32_e32 v1, s18, v1
	v_cmp_le_i32_e32 vcc, s20, v1
	v_lshl_add_u64 v[4:5], v[4:5], 0, s[14:15]
	s_or_b64 s[16:17], vcc, s[16:17]
	s_waitcnt vmcnt(0)
	v_fmac_f32_e32 v3, v6, v6
	v_fmac_f32_e32 v3, v7, v7
	;; [unrolled: 1-line block ×4, first 2 shown]
	s_andn2_b64 exec, exec, s[16:17]
	s_cbranch_execnz .LBB7_7
; %bb.8:
	s_or_b64 exec, exec, s[16:17]
.LBB7_9:
	s_or_b64 exec, exec, s[12:13]
	v_lshl_add_u32 v4, s20, 2, v0
	v_cmp_gt_i32_e32 vcc, s19, v4
	s_and_saveexec_b64 s[12:13], vcc
	s_cbranch_execz .LBB7_13
; %bb.10:
	s_lshl_b64 s[10:11], s[10:11], 2
	s_add_u32 s14, s4, s8
	s_addc_u32 s15, s5, s9
	s_add_u32 s10, s14, s10
	v_ashrrev_i32_e32 v5, 31, v4
	s_addc_u32 s11, s15, s11
	v_lshl_add_u64 v[6:7], v[4:5], 2, s[10:11]
	s_lshl_b32 s10, s18, 2
	s_mov_b32 s11, 0
	s_mov_b64 s[14:15], 0
.LBB7_11:                               ; =>This Inner Loop Header: Depth=1
	global_load_dword v1, v[6:7], off
	v_add_u32_e32 v4, s18, v4
	v_cmp_le_i32_e32 vcc, s19, v4
	v_lshl_add_u64 v[6:7], v[6:7], 0, s[10:11]
	s_or_b64 s[14:15], vcc, s[14:15]
	s_waitcnt vmcnt(0)
	v_fmac_f32_e32 v3, v1, v1
	s_andn2_b64 exec, exec, s[14:15]
	s_cbranch_execnz .LBB7_11
; %bb.12:
	s_or_b64 exec, exec, s[14:15]
.LBB7_13:
	s_or_b64 exec, exec, s[12:13]
	s_branch .LBB7_20
.LBB7_14:
                                        ; implicit-def: $vgpr3
	s_cbranch_execz .LBB7_20
; %bb.15:
	s_ashr_i32 s14, s3, 2
	v_cmp_gt_i32_e32 vcc, s14, v0
	v_mov_b32_e32 v3, 0
	s_and_saveexec_b64 s[10:11], vcc
	s_cbranch_execz .LBB7_19
; %bb.16:
	s_add_u32 s4, s4, s8
	v_lshlrev_b32_e32 v2, 4, v0
	v_mov_b32_e32 v3, 0
	s_addc_u32 s5, s5, s9
	v_lshl_add_u64 v[4:5], s[4:5], 0, v[2:3]
	s_mov_b32 s13, 0
	v_lshl_add_u64 v[4:5], v[4:5], 0, 8
	s_lshl_b32 s12, s18, 4
	s_mov_b64 s[4:5], 0
	v_mov_b32_e32 v1, v0
.LBB7_17:                               ; =>This Inner Loop Header: Depth=1
	global_load_dwordx4 v[6:9], v[4:5], off offset:-8
	v_add_u32_e32 v1, s18, v1
	v_cmp_le_i32_e32 vcc, s14, v1
	v_lshl_add_u64 v[4:5], v[4:5], 0, s[12:13]
	s_or_b64 s[4:5], vcc, s[4:5]
	s_waitcnt vmcnt(0)
	v_fmac_f32_e32 v3, v6, v6
	v_fmac_f32_e32 v3, v7, v7
	;; [unrolled: 1-line block ×4, first 2 shown]
	s_andn2_b64 exec, exec, s[4:5]
	s_cbranch_execnz .LBB7_17
; %bb.18:
	s_or_b64 exec, exec, s[4:5]
.LBB7_19:
	s_or_b64 exec, exec, s[10:11]
.LBB7_20:
	v_mbcnt_lo_u32_b32 v1, -1, 0
	v_mbcnt_hi_u32_b32 v1, -1, v1
	v_and_b32_e32 v2, 63, v1
	v_cmp_ne_u32_e32 vcc, 63, v2
	v_and_b32_e32 v5, 0x3c0, v0
	v_sub_u32_e64 v5, s18, v5 clamp
	v_addc_co_u32_e32 v4, vcc, 0, v1, vcc
	v_lshlrev_b32_e32 v4, 2, v4
	ds_bpermute_b32 v4, v4, v3
	v_add_u32_e32 v6, 1, v1
	v_cmp_lt_u32_e32 vcc, v6, v5
	v_add_u32_e32 v6, 2, v1
	s_waitcnt lgkmcnt(0)
	v_add_f32_e32 v4, v3, v4
	v_cndmask_b32_e32 v3, v3, v4, vcc
	v_cmp_gt_u32_e32 vcc, 62, v2
	s_nop 1
	v_cndmask_b32_e64 v4, 0, 1, vcc
	v_lshlrev_b32_e32 v4, 1, v4
	v_add_lshl_u32 v4, v4, v1, 2
	ds_bpermute_b32 v4, v4, v3
	v_cmp_lt_u32_e32 vcc, v6, v5
	v_add_u32_e32 v6, 4, v1
	s_waitcnt lgkmcnt(0)
	v_add_f32_e32 v4, v3, v4
	v_cndmask_b32_e32 v3, v3, v4, vcc
	v_cmp_gt_u32_e32 vcc, 60, v2
	s_nop 1
	v_cndmask_b32_e64 v4, 0, 1, vcc
	v_lshlrev_b32_e32 v4, 2, v4
	v_add_lshl_u32 v4, v4, v1, 2
	ds_bpermute_b32 v4, v4, v3
	v_cmp_lt_u32_e32 vcc, v6, v5
	v_add_u32_e32 v6, 8, v1
	s_waitcnt lgkmcnt(0)
	v_add_f32_e32 v4, v3, v4
	v_cndmask_b32_e32 v3, v3, v4, vcc
	v_cmp_gt_u32_e32 vcc, 56, v2
	s_nop 1
	v_cndmask_b32_e64 v4, 0, 1, vcc
	v_lshlrev_b32_e32 v4, 3, v4
	v_add_lshl_u32 v4, v4, v1, 2
	ds_bpermute_b32 v4, v4, v3
	v_cmp_lt_u32_e32 vcc, v6, v5
	v_add_u32_e32 v6, 16, v1
	s_waitcnt lgkmcnt(0)
	v_add_f32_e32 v4, v3, v4
	v_cndmask_b32_e32 v3, v3, v4, vcc
	v_cmp_gt_u32_e32 vcc, 48, v2
	s_nop 1
	v_cndmask_b32_e64 v4, 0, 1, vcc
	v_lshlrev_b32_e32 v4, 4, v4
	v_add_lshl_u32 v4, v4, v1, 2
	ds_bpermute_b32 v4, v4, v3
	v_cmp_lt_u32_e32 vcc, v6, v5
	s_waitcnt lgkmcnt(0)
	v_add_f32_e32 v4, v3, v4
	v_cndmask_b32_e32 v3, v3, v4, vcc
	v_cmp_gt_u32_e32 vcc, 32, v2
	v_add_u32_e32 v4, 32, v1
	s_nop 0
	v_cndmask_b32_e64 v2, 0, 1, vcc
	v_lshlrev_b32_e32 v2, 5, v2
	v_add_lshl_u32 v2, v2, v1, 2
	ds_bpermute_b32 v2, v2, v3
	v_cmp_lt_u32_e32 vcc, v4, v5
	s_waitcnt lgkmcnt(0)
	v_add_f32_e32 v2, v3, v2
	v_cndmask_b32_e32 v2, v3, v2, vcc
	v_cmp_eq_u32_e32 vcc, 0, v1
	s_and_saveexec_b64 s[4:5], vcc
	s_cbranch_execz .LBB7_22
; %bb.21:
	v_lshrrev_b32_e32 v3, 4, v0
	v_and_b32_e32 v3, 60, v3
	ds_write_b32 v3, v2
.LBB7_22:
	s_or_b64 exec, exec, s[4:5]
	v_cmp_gt_u32_e32 vcc, 16, v0
	s_waitcnt lgkmcnt(0)
	s_barrier
	s_and_saveexec_b64 s[8:9], vcc
	s_cbranch_execz .LBB7_24
; %bb.23:
	v_lshlrev_b32_e32 v2, 2, v1
	ds_read_b32 v2, v2
	v_and_b32_e32 v3, 15, v1
	v_cmp_ne_u32_e32 vcc, 15, v3
	s_add_i32 s4, s18, 63
	s_lshr_b32 s10, s4, 6
	v_addc_co_u32_e32 v4, vcc, 0, v1, vcc
	v_lshlrev_b32_e32 v4, 2, v4
	s_waitcnt lgkmcnt(0)
	ds_bpermute_b32 v4, v4, v2
	v_add_u32_e32 v5, 1, v3
	v_cmp_gt_u32_e64 s[4:5], 14, v3
	v_cmp_gt_u32_e32 vcc, s10, v5
	v_add_u32_e32 v6, 2, v3
	v_cndmask_b32_e64 v5, 0, 1, s[4:5]
	s_waitcnt lgkmcnt(0)
	v_add_f32_e32 v4, v2, v4
	v_lshlrev_b32_e32 v5, 1, v5
	v_cndmask_b32_e32 v4, v2, v4, vcc
	v_add_lshl_u32 v5, v5, v1, 2
	ds_bpermute_b32 v5, v5, v4
	v_cmp_gt_u32_e64 s[4:5], s10, v6
	v_add_u32_e32 v6, 4, v3
	s_waitcnt lgkmcnt(0)
	v_add_f32_e32 v5, v4, v5
	v_cndmask_b32_e64 v4, v4, v5, s[4:5]
	v_cmp_gt_u32_e64 s[4:5], 12, v3
	s_nop 1
	v_cndmask_b32_e64 v5, 0, 1, s[4:5]
	v_lshlrev_b32_e32 v5, 2, v5
	v_add_lshl_u32 v5, v5, v1, 2
	ds_bpermute_b32 v5, v5, v4
	v_cmp_gt_u32_e64 s[4:5], s10, v6
	s_waitcnt lgkmcnt(0)
	v_add_f32_e32 v5, v4, v5
	v_cndmask_b32_e64 v4, v4, v5, s[4:5]
	v_cmp_gt_u32_e64 s[4:5], 8, v3
	v_add_u32_e32 v3, 8, v3
	s_nop 0
	v_cndmask_b32_e64 v5, 0, 1, s[4:5]
	v_lshlrev_b32_e32 v5, 3, v5
	v_add_lshl_u32 v1, v5, v1, 2
	ds_bpermute_b32 v1, v1, v4
	v_cmp_gt_u32_e64 s[4:5], s10, v3
	s_waitcnt lgkmcnt(0)
	v_add_f32_e32 v1, v4, v1
	v_cndmask_b32_e64 v1, v4, v1, s[4:5]
	v_cndmask_b32_e32 v2, v2, v1, vcc
.LBB7_24:
	s_or_b64 exec, exec, s[8:9]
	v_cmp_eq_u32_e32 vcc, 0, v0
	s_and_saveexec_b64 s[4:5], vcc
	s_cbranch_execz .LBB7_26
; %bb.25:
	v_cvt_f32_i32_e32 v1, s3
	s_load_dword s10, s[0:1], 0x28
	v_div_scale_f32 v3, s[8:9], v1, v1, v2
	v_rcp_f32_e32 v4, v3
	v_div_scale_f32 v5, vcc, v2, v1, v2
	s_mov_b32 s8, 0x800000
	v_fma_f32 v6, -v3, v4, 1.0
	v_fmac_f32_e32 v4, v6, v4
	v_mul_f32_e32 v6, v5, v4
	v_fma_f32 v7, -v3, v6, v5
	v_fmac_f32_e32 v6, v7, v4
	v_fma_f32 v3, -v3, v6, v5
	v_div_fmas_f32 v3, v3, v4, v6
	v_div_fixup_f32 v1, v3, v1, v2
	s_waitcnt lgkmcnt(0)
	v_add_f32_e32 v1, s10, v1
	v_mul_f32_e32 v2, 0x4b800000, v1
	v_cmp_gt_f32_e32 vcc, s8, v1
	s_nop 1
	v_cndmask_b32_e32 v1, v1, v2, vcc
	v_rsq_f32_e32 v1, v1
	s_nop 0
	v_mul_f32_e32 v2, 0x45800000, v1
	v_cndmask_b32_e32 v1, v1, v2, vcc
	v_mov_b32_e32 v2, 0
	ds_write_b32 v2, v1 offset:64
.LBB7_26:
	s_or_b64 exec, exec, s[4:5]
	s_ashr_i32 s4, s3, 31
	s_lshr_b32 s4, s4, 30
	s_add_i32 s4, s3, s4
	s_ashr_i32 s16, s4, 2
	v_cmp_gt_i32_e32 vcc, s16, v0
	s_waitcnt lgkmcnt(0)
	s_barrier
	s_and_saveexec_b64 s[4:5], vcc
	s_cbranch_execz .LBB7_29
; %bb.27:
	s_load_dwordx4 s[8:11], s[0:1], 0x18
	s_load_dwordx2 s[12:13], s[0:1], 0x0
	s_mul_i32 s2, s2, s3
	v_mov_b32_e32 v3, 0
	ds_read_b32 v1, v3 offset:64
	s_waitcnt lgkmcnt(0)
	s_load_dword s3, s[10:11], 0x0
	s_lshl_b32 s17, s18, 2
	v_lshlrev_b32_e32 v2, 4, v0
	v_lshl_add_u32 v4, v0, 2, s2
	s_mov_b32 s11, 0
	s_waitcnt lgkmcnt(0)
	v_div_scale_f32 v5, s[0:1], s3, s3, 1.0
	v_rcp_f32_e32 v6, v5
	v_div_scale_f32 v7, vcc, 1.0, s3, 1.0
	s_lshl_b32 s10, s18, 4
	v_fma_f32 v8, -v5, v6, 1.0
	v_fmac_f32_e32 v6, v8, v6
	v_mul_f32_e32 v8, v7, v6
	v_fma_f32 v9, -v5, v8, v7
	v_fmac_f32_e32 v8, v9, v6
	v_fma_f32 v5, -v5, v8, v7
	v_div_fmas_f32 v5, v5, v6, v8
	v_div_fixup_f32 v5, v5, s3, 1.0
	s_mov_b64 s[14:15], 0
	s_mov_b32 s19, 0x7f800000
	s_mov_b32 s20, 0x43700000
	v_mov_b32_e32 v6, 0xc3700000
.LBB7_28:                               ; =>This Inner Loop Header: Depth=1
	v_lshl_add_u64 v[16:17], s[6:7], 0, v[2:3]
	v_lshl_add_u64 v[18:19], s[8:9], 0, v[2:3]
	global_load_dwordx4 v[8:11], v[16:17], off
	global_load_dwordx4 v[12:15], v[18:19], off
	v_add_u32_e32 v0, s18, v0
	v_cmp_le_i32_e32 vcc, s16, v0
	v_mov_b32_e32 v7, 0
	s_or_b64 s[14:15], vcc, s[14:15]
	v_mov_b32_e32 v16, 0
	v_mov_b32_e32 v18, 0
	;; [unrolled: 1-line block ×3, first 2 shown]
	v_add_u32_e32 v17, 1, v4
	v_add_u32_e32 v19, 2, v4
	;; [unrolled: 1-line block ×3, first 2 shown]
	v_lshl_add_u64 v[2:3], v[2:3], 0, s[10:11]
	s_waitcnt vmcnt(1)
	v_mul_f32_e32 v8, v8, v1
	v_mul_f32_e32 v9, v9, v1
	s_waitcnt vmcnt(0)
	v_mul_f32_e32 v8, v8, v12
	v_mul_f32_e32 v10, v10, v1
	;; [unrolled: 1-line block ×7, first 2 shown]
	v_min_f32_e32 v8, 0x43600000, v8
	v_mul_f32_e32 v11, v11, v15
	v_mul_f32_e32 v10, v5, v10
	v_min_f32_e32 v9, 0x43600000, v9
	v_max_f32_e32 v8, 0xc3600000, v8
	v_mul_f32_e32 v11, v5, v11
	v_min_f32_e32 v10, 0x43600000, v10
	v_max_f32_e32 v9, 0xc3600000, v9
	v_med3_f32 v12, v8, s20, v6
	v_cmp_nlg_f32_e64 s[4:5], |v8|, s19
	v_min_f32_e32 v11, 0x43600000, v11
	v_max_f32_e32 v10, 0xc3600000, v10
	v_med3_f32 v13, v9, s20, v6
	v_cmp_nlg_f32_e64 vcc, |v9|, s19
	v_cndmask_b32_e64 v8, v12, v8, s[4:5]
	v_max_f32_e32 v11, 0xc3600000, v11
	v_med3_f32 v14, v10, s20, v6
	v_cmp_nlg_f32_e64 s[0:1], |v10|, s19
	v_cndmask_b32_e32 v9, v13, v9, vcc
	v_cvt_pk_fp8_f32 v7, v8, v8
	v_med3_f32 v15, v11, s20, v6
	v_cmp_nlg_f32_e64 s[2:3], |v11|, s19
	v_cndmask_b32_e64 v10, v14, v10, s[0:1]
	v_cvt_pk_fp8_f32 v16, v9, v9
	v_cndmask_b32_e64 v11, v15, v11, s[2:3]
	v_cvt_pk_fp8_f32 v18, v10, v10
	v_cvt_pk_fp8_f32 v20, v11, v11
	global_store_byte v4, v7, s[12:13]
	global_store_byte v17, v16, s[12:13]
	;; [unrolled: 1-line block ×4, first 2 shown]
	v_add_u32_e32 v4, s17, v4
	s_andn2_b64 exec, exec, s[14:15]
	s_cbranch_execnz .LBB7_28
.LBB7_29:
	s_endpgm
	.section	.rodata,"a",@progbits
	.p2align	6, 0x0
	.amdhsa_kernel _ZN4vllm32rms_norm_static_fp8_quant_kernelIfN3c1015Float8_e4m3fnuzELi4EEEvPT0_PKT_iS7_PKffii
		.amdhsa_group_segment_fixed_size 68
		.amdhsa_private_segment_fixed_size 0
		.amdhsa_kernarg_size 312
		.amdhsa_user_sgpr_count 2
		.amdhsa_user_sgpr_dispatch_ptr 0
		.amdhsa_user_sgpr_queue_ptr 0
		.amdhsa_user_sgpr_kernarg_segment_ptr 1
		.amdhsa_user_sgpr_dispatch_id 0
		.amdhsa_user_sgpr_kernarg_preload_length 0
		.amdhsa_user_sgpr_kernarg_preload_offset 0
		.amdhsa_user_sgpr_private_segment_size 0
		.amdhsa_uses_dynamic_stack 0
		.amdhsa_enable_private_segment 0
		.amdhsa_system_sgpr_workgroup_id_x 1
		.amdhsa_system_sgpr_workgroup_id_y 0
		.amdhsa_system_sgpr_workgroup_id_z 0
		.amdhsa_system_sgpr_workgroup_info 0
		.amdhsa_system_vgpr_workitem_id 0
		.amdhsa_next_free_vgpr 22
		.amdhsa_next_free_sgpr 22
		.amdhsa_accum_offset 24
		.amdhsa_reserve_vcc 1
		.amdhsa_float_round_mode_32 0
		.amdhsa_float_round_mode_16_64 0
		.amdhsa_float_denorm_mode_32 3
		.amdhsa_float_denorm_mode_16_64 3
		.amdhsa_dx10_clamp 1
		.amdhsa_ieee_mode 1
		.amdhsa_fp16_overflow 0
		.amdhsa_tg_split 0
		.amdhsa_exception_fp_ieee_invalid_op 0
		.amdhsa_exception_fp_denorm_src 0
		.amdhsa_exception_fp_ieee_div_zero 0
		.amdhsa_exception_fp_ieee_overflow 0
		.amdhsa_exception_fp_ieee_underflow 0
		.amdhsa_exception_fp_ieee_inexact 0
		.amdhsa_exception_int_div_zero 0
	.end_amdhsa_kernel
	.section	.text._ZN4vllm32rms_norm_static_fp8_quant_kernelIfN3c1015Float8_e4m3fnuzELi4EEEvPT0_PKT_iS7_PKffii,"axG",@progbits,_ZN4vllm32rms_norm_static_fp8_quant_kernelIfN3c1015Float8_e4m3fnuzELi4EEEvPT0_PKT_iS7_PKffii,comdat
.Lfunc_end7:
	.size	_ZN4vllm32rms_norm_static_fp8_quant_kernelIfN3c1015Float8_e4m3fnuzELi4EEEvPT0_PKT_iS7_PKffii, .Lfunc_end7-_ZN4vllm32rms_norm_static_fp8_quant_kernelIfN3c1015Float8_e4m3fnuzELi4EEEvPT0_PKT_iS7_PKffii
                                        ; -- End function
	.section	.AMDGPU.csdata,"",@progbits
; Kernel info:
; codeLenInByte = 2072
; NumSgprs: 28
; NumVgprs: 22
; NumAgprs: 0
; TotalNumVgprs: 22
; ScratchSize: 0
; MemoryBound: 0
; FloatMode: 240
; IeeeMode: 1
; LDSByteSize: 68 bytes/workgroup (compile time only)
; SGPRBlocks: 3
; VGPRBlocks: 2
; NumSGPRsForWavesPerEU: 28
; NumVGPRsForWavesPerEU: 22
; AccumOffset: 24
; Occupancy: 8
; WaveLimiterHint : 0
; COMPUTE_PGM_RSRC2:SCRATCH_EN: 0
; COMPUTE_PGM_RSRC2:USER_SGPR: 2
; COMPUTE_PGM_RSRC2:TRAP_HANDLER: 0
; COMPUTE_PGM_RSRC2:TGID_X_EN: 1
; COMPUTE_PGM_RSRC2:TGID_Y_EN: 0
; COMPUTE_PGM_RSRC2:TGID_Z_EN: 0
; COMPUTE_PGM_RSRC2:TIDIG_COMP_CNT: 0
; COMPUTE_PGM_RSRC3_GFX90A:ACCUM_OFFSET: 5
; COMPUTE_PGM_RSRC3_GFX90A:TG_SPLIT: 0
	.section	.text._ZN4vllm32rms_norm_static_fp8_quant_kernelIfN3c1015Float8_e4m3fnuzELi2EEEvPT0_PKT_iS7_PKffii,"axG",@progbits,_ZN4vllm32rms_norm_static_fp8_quant_kernelIfN3c1015Float8_e4m3fnuzELi2EEEvPT0_PKT_iS7_PKffii,comdat
	.protected	_ZN4vllm32rms_norm_static_fp8_quant_kernelIfN3c1015Float8_e4m3fnuzELi2EEEvPT0_PKT_iS7_PKffii ; -- Begin function _ZN4vllm32rms_norm_static_fp8_quant_kernelIfN3c1015Float8_e4m3fnuzELi2EEEvPT0_PKT_iS7_PKffii
	.globl	_ZN4vllm32rms_norm_static_fp8_quant_kernelIfN3c1015Float8_e4m3fnuzELi2EEEvPT0_PKT_iS7_PKffii
	.p2align	8
	.type	_ZN4vllm32rms_norm_static_fp8_quant_kernelIfN3c1015Float8_e4m3fnuzELi2EEEvPT0_PKT_iS7_PKffii,@function
_ZN4vllm32rms_norm_static_fp8_quant_kernelIfN3c1015Float8_e4m3fnuzELi2EEEvPT0_PKT_iS7_PKffii: ; @_ZN4vllm32rms_norm_static_fp8_quant_kernelIfN3c1015Float8_e4m3fnuzELi2EEEvPT0_PKT_iS7_PKffii
; %bb.0:
	s_load_dword s6, s[0:1], 0x10
	s_load_dwordx2 s[4:5], s[0:1], 0x8
	s_load_dword s3, s[0:1], 0x30
	s_load_dword s12, s[0:1], 0x44
	s_mov_b32 s11, 0
	s_waitcnt lgkmcnt(0)
	s_mul_i32 s10, s2, s6
	s_lshl_b64 s[6:7], s[10:11], 2
	s_add_u32 s8, s4, s6
	s_addc_u32 s9, s5, s7
	s_and_b32 s18, s12, 0xffff
	s_and_b32 s10, s8, 7
	s_cmp_lg_u64 s[10:11], 0
	s_cselect_b64 s[10:11], -1, 0
	s_bitcmp1_b32 s3, 0
	s_cselect_b64 s[12:13], -1, 0
	s_or_b64 s[10:11], s[10:11], s[12:13]
	s_and_b64 vcc, exec, s[10:11]
	s_cbranch_vccz .LBB8_13
; %bb.1:
	s_sub_i32 s10, 0, s8
	s_bfe_u32 s10, s10, 0x10002
	s_min_i32 s10, s10, s3
	v_cmp_gt_i32_e32 vcc, s10, v0
	v_mov_b32_e32 v3, 0
	s_and_saveexec_b64 s[12:13], vcc
	s_cbranch_execz .LBB8_4
; %bb.2:
	s_lshl_b32 s11, s18, 2
	s_mov_b32 s16, 0
	v_mov_b32_e32 v3, 0
	s_mov_b64 s[14:15], s[8:9]
.LBB8_3:                                ; =>This Inner Loop Header: Depth=1
	s_load_dword s17, s[14:15], 0x0
	s_add_i32 s16, s16, s18
	s_add_u32 s14, s14, s11
	s_addc_u32 s15, s15, 0
	s_cmp_ge_i32 s16, s10
	s_waitcnt lgkmcnt(0)
	v_fmac_f32_e64 v3, s17, s17
	s_cbranch_scc0 .LBB8_3
.LBB8_4:
	s_or_b64 exec, exec, s[12:13]
	s_sub_i32 s19, s3, s10
	s_lshr_b32 s12, s19, 31
	s_add_i32 s12, s19, s12
	s_ashr_i32 s20, s12, 1
	s_ashr_i32 s11, s10, 31
	v_cmp_gt_i32_e32 vcc, s20, v0
	s_and_saveexec_b64 s[12:13], vcc
	s_cbranch_execz .LBB8_8
; %bb.5:
	s_lshl_b64 s[16:17], s[10:11], 2
	s_add_u32 s14, s4, s6
	s_addc_u32 s21, s5, s7
	s_add_u32 s16, s14, s16
	v_lshlrev_b32_e32 v4, 3, v0
	v_mov_b32_e32 v5, 0
	s_addc_u32 s17, s21, s17
	v_lshl_add_u64 v[4:5], s[16:17], 0, v[4:5]
	s_mov_b32 s15, 0
	v_lshl_add_u64 v[4:5], v[4:5], 0, 4
	s_lshl_b32 s14, s18, 3
	s_mov_b64 s[16:17], 0
	v_mov_b32_e32 v1, v0
.LBB8_6:                                ; =>This Inner Loop Header: Depth=1
	global_load_dwordx2 v[6:7], v[4:5], off offset:-4
	v_add_u32_e32 v1, s18, v1
	v_cmp_le_i32_e32 vcc, s20, v1
	v_lshl_add_u64 v[4:5], v[4:5], 0, s[14:15]
	s_or_b64 s[16:17], vcc, s[16:17]
	s_waitcnt vmcnt(0)
	v_fmac_f32_e32 v3, v6, v6
	v_fmac_f32_e32 v3, v7, v7
	s_andn2_b64 exec, exec, s[16:17]
	s_cbranch_execnz .LBB8_6
; %bb.7:
	s_or_b64 exec, exec, s[16:17]
.LBB8_8:
	s_or_b64 exec, exec, s[12:13]
	v_lshl_add_u32 v4, s20, 1, v0
	v_cmp_gt_i32_e32 vcc, s19, v4
	s_and_saveexec_b64 s[12:13], vcc
	s_cbranch_execz .LBB8_12
; %bb.9:
	s_lshl_b64 s[10:11], s[10:11], 2
	s_add_u32 s14, s4, s6
	s_addc_u32 s15, s5, s7
	s_add_u32 s10, s14, s10
	v_ashrrev_i32_e32 v5, 31, v4
	s_addc_u32 s11, s15, s11
	v_lshl_add_u64 v[6:7], v[4:5], 2, s[10:11]
	s_lshl_b32 s10, s18, 2
	s_mov_b32 s11, 0
	s_mov_b64 s[14:15], 0
.LBB8_10:                               ; =>This Inner Loop Header: Depth=1
	global_load_dword v1, v[6:7], off
	v_add_u32_e32 v4, s18, v4
	v_cmp_le_i32_e32 vcc, s19, v4
	v_lshl_add_u64 v[6:7], v[6:7], 0, s[10:11]
	s_or_b64 s[14:15], vcc, s[14:15]
	s_waitcnt vmcnt(0)
	v_fmac_f32_e32 v3, v1, v1
	s_andn2_b64 exec, exec, s[14:15]
	s_cbranch_execnz .LBB8_10
; %bb.11:
	s_or_b64 exec, exec, s[14:15]
.LBB8_12:
	s_or_b64 exec, exec, s[12:13]
	s_branch .LBB8_19
.LBB8_13:
                                        ; implicit-def: $vgpr3
	s_cbranch_execz .LBB8_19
; %bb.14:
	s_ashr_i32 s14, s3, 1
	v_cmp_gt_i32_e32 vcc, s14, v0
	v_mov_b32_e32 v3, 0
	s_and_saveexec_b64 s[10:11], vcc
	s_cbranch_execz .LBB8_18
; %bb.15:
	s_add_u32 s4, s4, s6
	v_lshlrev_b32_e32 v2, 3, v0
	v_mov_b32_e32 v3, 0
	s_addc_u32 s5, s5, s7
	v_lshl_add_u64 v[4:5], s[4:5], 0, v[2:3]
	s_mov_b32 s13, 0
	v_lshl_add_u64 v[4:5], v[4:5], 0, 4
	s_lshl_b32 s12, s18, 3
	s_mov_b64 s[4:5], 0
	v_mov_b32_e32 v1, v0
.LBB8_16:                               ; =>This Inner Loop Header: Depth=1
	global_load_dwordx2 v[6:7], v[4:5], off offset:-4
	v_add_u32_e32 v1, s18, v1
	v_cmp_le_i32_e32 vcc, s14, v1
	v_lshl_add_u64 v[4:5], v[4:5], 0, s[12:13]
	s_or_b64 s[4:5], vcc, s[4:5]
	s_waitcnt vmcnt(0)
	v_fmac_f32_e32 v3, v6, v6
	v_fmac_f32_e32 v3, v7, v7
	s_andn2_b64 exec, exec, s[4:5]
	s_cbranch_execnz .LBB8_16
; %bb.17:
	s_or_b64 exec, exec, s[4:5]
.LBB8_18:
	s_or_b64 exec, exec, s[10:11]
.LBB8_19:
	v_mbcnt_lo_u32_b32 v1, -1, 0
	v_mbcnt_hi_u32_b32 v1, -1, v1
	v_and_b32_e32 v2, 63, v1
	v_cmp_ne_u32_e32 vcc, 63, v2
	v_and_b32_e32 v5, 0x3c0, v0
	v_sub_u32_e64 v5, s18, v5 clamp
	v_addc_co_u32_e32 v4, vcc, 0, v1, vcc
	v_lshlrev_b32_e32 v4, 2, v4
	ds_bpermute_b32 v4, v4, v3
	v_add_u32_e32 v6, 1, v1
	v_cmp_lt_u32_e32 vcc, v6, v5
	v_add_u32_e32 v6, 2, v1
	s_waitcnt lgkmcnt(0)
	v_add_f32_e32 v4, v3, v4
	v_cndmask_b32_e32 v3, v3, v4, vcc
	v_cmp_gt_u32_e32 vcc, 62, v2
	s_nop 1
	v_cndmask_b32_e64 v4, 0, 1, vcc
	v_lshlrev_b32_e32 v4, 1, v4
	v_add_lshl_u32 v4, v4, v1, 2
	ds_bpermute_b32 v4, v4, v3
	v_cmp_lt_u32_e32 vcc, v6, v5
	v_add_u32_e32 v6, 4, v1
	s_waitcnt lgkmcnt(0)
	v_add_f32_e32 v4, v3, v4
	v_cndmask_b32_e32 v3, v3, v4, vcc
	v_cmp_gt_u32_e32 vcc, 60, v2
	s_nop 1
	v_cndmask_b32_e64 v4, 0, 1, vcc
	v_lshlrev_b32_e32 v4, 2, v4
	v_add_lshl_u32 v4, v4, v1, 2
	ds_bpermute_b32 v4, v4, v3
	;; [unrolled: 11-line block ×4, first 2 shown]
	v_cmp_lt_u32_e32 vcc, v6, v5
	s_waitcnt lgkmcnt(0)
	v_add_f32_e32 v4, v3, v4
	v_cndmask_b32_e32 v3, v3, v4, vcc
	v_cmp_gt_u32_e32 vcc, 32, v2
	v_add_u32_e32 v4, 32, v1
	s_nop 0
	v_cndmask_b32_e64 v2, 0, 1, vcc
	v_lshlrev_b32_e32 v2, 5, v2
	v_add_lshl_u32 v2, v2, v1, 2
	ds_bpermute_b32 v2, v2, v3
	v_cmp_lt_u32_e32 vcc, v4, v5
	s_waitcnt lgkmcnt(0)
	v_add_f32_e32 v2, v3, v2
	v_cndmask_b32_e32 v2, v3, v2, vcc
	v_cmp_eq_u32_e32 vcc, 0, v1
	s_and_saveexec_b64 s[4:5], vcc
	s_cbranch_execz .LBB8_21
; %bb.20:
	v_lshrrev_b32_e32 v3, 4, v0
	v_and_b32_e32 v3, 60, v3
	ds_write_b32 v3, v2
.LBB8_21:
	s_or_b64 exec, exec, s[4:5]
	v_cmp_gt_u32_e32 vcc, 16, v0
	s_waitcnt lgkmcnt(0)
	s_barrier
	s_and_saveexec_b64 s[6:7], vcc
	s_cbranch_execz .LBB8_23
; %bb.22:
	v_lshlrev_b32_e32 v2, 2, v1
	ds_read_b32 v2, v2
	v_and_b32_e32 v3, 15, v1
	v_cmp_ne_u32_e32 vcc, 15, v3
	s_add_i32 s4, s18, 63
	s_lshr_b32 s10, s4, 6
	v_addc_co_u32_e32 v4, vcc, 0, v1, vcc
	v_lshlrev_b32_e32 v4, 2, v4
	s_waitcnt lgkmcnt(0)
	ds_bpermute_b32 v4, v4, v2
	v_add_u32_e32 v5, 1, v3
	v_cmp_gt_u32_e64 s[4:5], 14, v3
	v_cmp_gt_u32_e32 vcc, s10, v5
	v_add_u32_e32 v6, 2, v3
	v_cndmask_b32_e64 v5, 0, 1, s[4:5]
	s_waitcnt lgkmcnt(0)
	v_add_f32_e32 v4, v2, v4
	v_lshlrev_b32_e32 v5, 1, v5
	v_cndmask_b32_e32 v4, v2, v4, vcc
	v_add_lshl_u32 v5, v5, v1, 2
	ds_bpermute_b32 v5, v5, v4
	v_cmp_gt_u32_e64 s[4:5], s10, v6
	v_add_u32_e32 v6, 4, v3
	s_waitcnt lgkmcnt(0)
	v_add_f32_e32 v5, v4, v5
	v_cndmask_b32_e64 v4, v4, v5, s[4:5]
	v_cmp_gt_u32_e64 s[4:5], 12, v3
	s_nop 1
	v_cndmask_b32_e64 v5, 0, 1, s[4:5]
	v_lshlrev_b32_e32 v5, 2, v5
	v_add_lshl_u32 v5, v5, v1, 2
	ds_bpermute_b32 v5, v5, v4
	v_cmp_gt_u32_e64 s[4:5], s10, v6
	s_waitcnt lgkmcnt(0)
	v_add_f32_e32 v5, v4, v5
	v_cndmask_b32_e64 v4, v4, v5, s[4:5]
	v_cmp_gt_u32_e64 s[4:5], 8, v3
	v_add_u32_e32 v3, 8, v3
	s_nop 0
	v_cndmask_b32_e64 v5, 0, 1, s[4:5]
	v_lshlrev_b32_e32 v5, 3, v5
	v_add_lshl_u32 v1, v5, v1, 2
	ds_bpermute_b32 v1, v1, v4
	v_cmp_gt_u32_e64 s[4:5], s10, v3
	s_waitcnt lgkmcnt(0)
	v_add_f32_e32 v1, v4, v1
	v_cndmask_b32_e64 v1, v4, v1, s[4:5]
	v_cndmask_b32_e32 v2, v2, v1, vcc
.LBB8_23:
	s_or_b64 exec, exec, s[6:7]
	v_cmp_eq_u32_e32 vcc, 0, v0
	s_and_saveexec_b64 s[4:5], vcc
	s_cbranch_execz .LBB8_25
; %bb.24:
	v_cvt_f32_i32_e32 v1, s3
	s_load_dword s10, s[0:1], 0x28
	v_div_scale_f32 v3, s[6:7], v1, v1, v2
	v_rcp_f32_e32 v4, v3
	v_div_scale_f32 v5, vcc, v2, v1, v2
	s_mov_b32 s6, 0x800000
	v_fma_f32 v6, -v3, v4, 1.0
	v_fmac_f32_e32 v4, v6, v4
	v_mul_f32_e32 v6, v5, v4
	v_fma_f32 v7, -v3, v6, v5
	v_fmac_f32_e32 v6, v7, v4
	v_fma_f32 v3, -v3, v6, v5
	v_div_fmas_f32 v3, v3, v4, v6
	v_div_fixup_f32 v1, v3, v1, v2
	s_waitcnt lgkmcnt(0)
	v_add_f32_e32 v1, s10, v1
	v_mul_f32_e32 v2, 0x4b800000, v1
	v_cmp_gt_f32_e32 vcc, s6, v1
	s_nop 1
	v_cndmask_b32_e32 v1, v1, v2, vcc
	v_rsq_f32_e32 v1, v1
	s_nop 0
	v_mul_f32_e32 v2, 0x45800000, v1
	v_cndmask_b32_e32 v1, v1, v2, vcc
	v_mov_b32_e32 v2, 0
	ds_write_b32 v2, v1 offset:64
.LBB8_25:
	s_or_b64 exec, exec, s[4:5]
	s_lshr_b32 s4, s3, 31
	s_add_i32 s4, s3, s4
	s_ashr_i32 s14, s4, 1
	v_cmp_gt_i32_e32 vcc, s14, v0
	s_waitcnt lgkmcnt(0)
	s_barrier
	s_and_saveexec_b64 s[4:5], vcc
	s_cbranch_execz .LBB8_28
; %bb.26:
	s_load_dwordx4 s[4:7], s[0:1], 0x18
	s_load_dwordx2 s[10:11], s[0:1], 0x0
	s_mul_i32 s2, s2, s3
	v_mov_b32_e32 v3, 0
	ds_read_b32 v1, v3 offset:64
	s_waitcnt lgkmcnt(0)
	s_load_dword s3, s[6:7], 0x0
	s_lshl_b32 s15, s18, 1
	v_lshl_or_b32 v2, v0, 3, 4
	v_lshl_add_u32 v4, v0, 1, s2
	s_lshl_b32 s6, s18, 3
	s_waitcnt lgkmcnt(0)
	v_div_scale_f32 v5, s[0:1], s3, s3, 1.0
	v_rcp_f32_e32 v6, v5
	v_div_scale_f32 v7, vcc, 1.0, s3, 1.0
	s_mov_b32 s7, 0
	v_fma_f32 v8, -v5, v6, 1.0
	v_fmac_f32_e32 v6, v8, v6
	v_mul_f32_e32 v8, v7, v6
	v_fma_f32 v9, -v5, v8, v7
	v_fmac_f32_e32 v8, v9, v6
	v_fma_f32 v5, -v5, v8, v7
	v_div_fmas_f32 v5, v5, v6, v8
	v_div_fixup_f32 v5, v5, s3, 1.0
	s_mov_b64 s[12:13], 0
	s_mov_b32 s16, 0x7f800000
	s_mov_b32 s17, 0x43700000
	v_mov_b32_e32 v6, 0xc3700000
.LBB8_27:                               ; =>This Inner Loop Header: Depth=1
	v_lshl_add_u64 v[8:9], s[8:9], 0, v[2:3]
	v_lshl_add_u64 v[10:11], s[4:5], 0, v[2:3]
	global_load_dwordx2 v[12:13], v[8:9], off offset:-4
	global_load_dwordx2 v[14:15], v[10:11], off offset:-4
	v_mov_b32_e32 v7, 0
	v_mov_b32_e32 v8, 0
	v_add_u32_e32 v0, s18, v0
	v_cmp_le_i32_e32 vcc, s14, v0
	v_add_u32_e32 v9, 1, v4
	v_lshl_add_u64 v[2:3], v[2:3], 0, s[6:7]
	s_or_b64 s[12:13], vcc, s[12:13]
	s_waitcnt vmcnt(1)
	v_mul_f32_e32 v10, v12, v1
	v_mul_f32_e32 v11, v13, v1
	s_waitcnt vmcnt(0)
	v_mul_f32_e32 v10, v10, v14
	v_mul_f32_e32 v11, v11, v15
	;; [unrolled: 1-line block ×4, first 2 shown]
	v_min_f32_e32 v10, 0x43600000, v10
	v_min_f32_e32 v11, 0x43600000, v11
	v_max_f32_e32 v10, 0xc3600000, v10
	v_max_f32_e32 v11, 0xc3600000, v11
	v_med3_f32 v12, v10, s17, v6
	v_cmp_nlg_f32_e64 s[2:3], |v10|, s16
	v_med3_f32 v13, v11, s17, v6
	v_cmp_nlg_f32_e64 s[0:1], |v11|, s16
	v_cndmask_b32_e64 v10, v12, v10, s[2:3]
	v_cvt_pk_fp8_f32 v7, v10, v10
	v_cndmask_b32_e64 v11, v13, v11, s[0:1]
	v_cvt_pk_fp8_f32 v8, v11, v11
	global_store_byte v4, v7, s[10:11]
	global_store_byte v9, v8, s[10:11]
	v_add_u32_e32 v4, s15, v4
	s_andn2_b64 exec, exec, s[12:13]
	s_cbranch_execnz .LBB8_27
.LBB8_28:
	s_endpgm
	.section	.rodata,"a",@progbits
	.p2align	6, 0x0
	.amdhsa_kernel _ZN4vllm32rms_norm_static_fp8_quant_kernelIfN3c1015Float8_e4m3fnuzELi2EEEvPT0_PKT_iS7_PKffii
		.amdhsa_group_segment_fixed_size 68
		.amdhsa_private_segment_fixed_size 0
		.amdhsa_kernarg_size 312
		.amdhsa_user_sgpr_count 2
		.amdhsa_user_sgpr_dispatch_ptr 0
		.amdhsa_user_sgpr_queue_ptr 0
		.amdhsa_user_sgpr_kernarg_segment_ptr 1
		.amdhsa_user_sgpr_dispatch_id 0
		.amdhsa_user_sgpr_kernarg_preload_length 0
		.amdhsa_user_sgpr_kernarg_preload_offset 0
		.amdhsa_user_sgpr_private_segment_size 0
		.amdhsa_uses_dynamic_stack 0
		.amdhsa_enable_private_segment 0
		.amdhsa_system_sgpr_workgroup_id_x 1
		.amdhsa_system_sgpr_workgroup_id_y 0
		.amdhsa_system_sgpr_workgroup_id_z 0
		.amdhsa_system_sgpr_workgroup_info 0
		.amdhsa_system_vgpr_workitem_id 0
		.amdhsa_next_free_vgpr 16
		.amdhsa_next_free_sgpr 22
		.amdhsa_accum_offset 16
		.amdhsa_reserve_vcc 1
		.amdhsa_float_round_mode_32 0
		.amdhsa_float_round_mode_16_64 0
		.amdhsa_float_denorm_mode_32 3
		.amdhsa_float_denorm_mode_16_64 3
		.amdhsa_dx10_clamp 1
		.amdhsa_ieee_mode 1
		.amdhsa_fp16_overflow 0
		.amdhsa_tg_split 0
		.amdhsa_exception_fp_ieee_invalid_op 0
		.amdhsa_exception_fp_denorm_src 0
		.amdhsa_exception_fp_ieee_div_zero 0
		.amdhsa_exception_fp_ieee_overflow 0
		.amdhsa_exception_fp_ieee_underflow 0
		.amdhsa_exception_fp_ieee_inexact 0
		.amdhsa_exception_int_div_zero 0
	.end_amdhsa_kernel
	.section	.text._ZN4vllm32rms_norm_static_fp8_quant_kernelIfN3c1015Float8_e4m3fnuzELi2EEEvPT0_PKT_iS7_PKffii,"axG",@progbits,_ZN4vllm32rms_norm_static_fp8_quant_kernelIfN3c1015Float8_e4m3fnuzELi2EEEvPT0_PKT_iS7_PKffii,comdat
.Lfunc_end8:
	.size	_ZN4vllm32rms_norm_static_fp8_quant_kernelIfN3c1015Float8_e4m3fnuzELi2EEEvPT0_PKT_iS7_PKffii, .Lfunc_end8-_ZN4vllm32rms_norm_static_fp8_quant_kernelIfN3c1015Float8_e4m3fnuzELi2EEEvPT0_PKT_iS7_PKffii
                                        ; -- End function
	.section	.AMDGPU.csdata,"",@progbits
; Kernel info:
; codeLenInByte = 1868
; NumSgprs: 28
; NumVgprs: 16
; NumAgprs: 0
; TotalNumVgprs: 16
; ScratchSize: 0
; MemoryBound: 0
; FloatMode: 240
; IeeeMode: 1
; LDSByteSize: 68 bytes/workgroup (compile time only)
; SGPRBlocks: 3
; VGPRBlocks: 1
; NumSGPRsForWavesPerEU: 28
; NumVGPRsForWavesPerEU: 16
; AccumOffset: 16
; Occupancy: 8
; WaveLimiterHint : 0
; COMPUTE_PGM_RSRC2:SCRATCH_EN: 0
; COMPUTE_PGM_RSRC2:USER_SGPR: 2
; COMPUTE_PGM_RSRC2:TRAP_HANDLER: 0
; COMPUTE_PGM_RSRC2:TGID_X_EN: 1
; COMPUTE_PGM_RSRC2:TGID_Y_EN: 0
; COMPUTE_PGM_RSRC2:TGID_Z_EN: 0
; COMPUTE_PGM_RSRC2:TIDIG_COMP_CNT: 0
; COMPUTE_PGM_RSRC3_GFX90A:ACCUM_OFFSET: 3
; COMPUTE_PGM_RSRC3_GFX90A:TG_SPLIT: 0
	.section	.text._ZN4vllm32rms_norm_static_fp8_quant_kernelIfN3c1015Float8_e4m3fnuzELi1EEEvPT0_PKT_iS7_PKffii,"axG",@progbits,_ZN4vllm32rms_norm_static_fp8_quant_kernelIfN3c1015Float8_e4m3fnuzELi1EEEvPT0_PKT_iS7_PKffii,comdat
	.protected	_ZN4vllm32rms_norm_static_fp8_quant_kernelIfN3c1015Float8_e4m3fnuzELi1EEEvPT0_PKT_iS7_PKffii ; -- Begin function _ZN4vllm32rms_norm_static_fp8_quant_kernelIfN3c1015Float8_e4m3fnuzELi1EEEvPT0_PKT_iS7_PKffii
	.globl	_ZN4vllm32rms_norm_static_fp8_quant_kernelIfN3c1015Float8_e4m3fnuzELi1EEEvPT0_PKT_iS7_PKffii
	.p2align	8
	.type	_ZN4vllm32rms_norm_static_fp8_quant_kernelIfN3c1015Float8_e4m3fnuzELi1EEEvPT0_PKT_iS7_PKffii,@function
_ZN4vllm32rms_norm_static_fp8_quant_kernelIfN3c1015Float8_e4m3fnuzELi1EEEvPT0_PKT_iS7_PKffii: ; @_ZN4vllm32rms_norm_static_fp8_quant_kernelIfN3c1015Float8_e4m3fnuzELi1EEEvPT0_PKT_iS7_PKffii
; %bb.0:
	s_load_dword s4, s[0:1], 0x10
	s_load_dwordx2 s[6:7], s[0:1], 0x8
	s_load_dword s3, s[0:1], 0x30
	s_load_dword s12, s[0:1], 0x44
	s_mov_b32 s5, 0
	s_waitcnt lgkmcnt(0)
	s_mul_i32 s4, s2, s4
	s_lshl_b64 s[10:11], s[4:5], 2
	s_add_u32 s8, s6, s10
	s_addc_u32 s9, s7, s11
	s_and_b32 s16, s12, 0xffff
	s_and_b32 s4, s8, 3
	s_cmp_lg_u64 s[4:5], 0
	s_cbranch_scc0 .LBB9_6
; %bb.1:
	s_min_i32 s12, s3, 0
	s_sub_i32 s17, s3, s12
	v_cmp_gt_i32_e32 vcc, s17, v0
	v_mov_b32_e32 v3, 0
	s_and_saveexec_b64 s[4:5], vcc
	s_cbranch_execz .LBB9_5
; %bb.2:
	s_ashr_i32 s13, s12, 31
	s_lshl_b64 s[14:15], s[12:13], 2
	s_add_u32 s12, s6, s10
	s_addc_u32 s18, s7, s11
	s_add_u32 s14, s12, s14
	v_lshlrev_b32_e32 v2, 2, v0
	v_mov_b32_e32 v3, 0
	s_addc_u32 s15, s18, s15
	s_mov_b32 s13, 0
	v_lshl_add_u64 v[4:5], s[14:15], 0, v[2:3]
	s_lshl_b32 s12, s16, 2
	s_mov_b64 s[14:15], 0
	v_mov_b32_e32 v1, v0
.LBB9_3:                                ; =>This Inner Loop Header: Depth=1
	global_load_dword v2, v[4:5], off
	v_add_u32_e32 v1, s16, v1
	v_cmp_le_i32_e32 vcc, s17, v1
	v_lshl_add_u64 v[4:5], v[4:5], 0, s[12:13]
	s_or_b64 s[14:15], vcc, s[14:15]
	s_waitcnt vmcnt(0)
	v_fmac_f32_e32 v3, v2, v2
	s_andn2_b64 exec, exec, s[14:15]
	s_cbranch_execnz .LBB9_3
; %bb.4:
	s_or_b64 exec, exec, s[14:15]
.LBB9_5:
	s_or_b64 exec, exec, s[4:5]
	v_cmp_gt_i32_e64 s[4:5], s3, v0
	s_cbranch_execz .LBB9_7
	s_branch .LBB9_12
.LBB9_6:
                                        ; implicit-def: $vgpr3
	v_cmp_gt_i32_e64 s[4:5], s3, v0
.LBB9_7:
	v_mov_b32_e32 v3, 0
	s_and_saveexec_b64 s[12:13], s[4:5]
	s_cbranch_execz .LBB9_11
; %bb.8:
	s_add_u32 s6, s6, s10
	v_lshlrev_b32_e32 v2, 2, v0
	v_mov_b32_e32 v3, 0
	s_addc_u32 s7, s7, s11
	s_mov_b32 s5, 0
	v_lshl_add_u64 v[4:5], s[6:7], 0, v[2:3]
	s_lshl_b32 s4, s16, 2
	s_mov_b64 s[6:7], 0
	v_mov_b32_e32 v1, v0
.LBB9_9:                                ; =>This Inner Loop Header: Depth=1
	global_load_dword v2, v[4:5], off
	v_add_u32_e32 v1, s16, v1
	v_cmp_le_i32_e32 vcc, s3, v1
	v_lshl_add_u64 v[4:5], v[4:5], 0, s[4:5]
	s_or_b64 s[6:7], vcc, s[6:7]
	s_waitcnt vmcnt(0)
	v_fmac_f32_e32 v3, v2, v2
	s_andn2_b64 exec, exec, s[6:7]
	s_cbranch_execnz .LBB9_9
; %bb.10:
	s_or_b64 exec, exec, s[6:7]
.LBB9_11:
	s_or_b64 exec, exec, s[12:13]
.LBB9_12:
	v_mbcnt_lo_u32_b32 v1, -1, 0
	v_mbcnt_hi_u32_b32 v1, -1, v1
	v_and_b32_e32 v2, 63, v1
	v_cmp_ne_u32_e32 vcc, 63, v2
	v_and_b32_e32 v5, 0x3c0, v0
	v_sub_u32_e64 v5, s16, v5 clamp
	v_addc_co_u32_e32 v4, vcc, 0, v1, vcc
	v_lshlrev_b32_e32 v4, 2, v4
	ds_bpermute_b32 v4, v4, v3
	v_add_u32_e32 v6, 1, v1
	v_cmp_lt_u32_e32 vcc, v6, v5
	v_add_u32_e32 v6, 2, v1
	s_waitcnt lgkmcnt(0)
	v_add_f32_e32 v4, v3, v4
	v_cndmask_b32_e32 v3, v3, v4, vcc
	v_cmp_gt_u32_e32 vcc, 62, v2
	s_nop 1
	v_cndmask_b32_e64 v4, 0, 1, vcc
	v_lshlrev_b32_e32 v4, 1, v4
	v_add_lshl_u32 v4, v4, v1, 2
	ds_bpermute_b32 v4, v4, v3
	v_cmp_lt_u32_e32 vcc, v6, v5
	v_add_u32_e32 v6, 4, v1
	s_waitcnt lgkmcnt(0)
	v_add_f32_e32 v4, v3, v4
	v_cndmask_b32_e32 v3, v3, v4, vcc
	v_cmp_gt_u32_e32 vcc, 60, v2
	s_nop 1
	v_cndmask_b32_e64 v4, 0, 1, vcc
	v_lshlrev_b32_e32 v4, 2, v4
	v_add_lshl_u32 v4, v4, v1, 2
	ds_bpermute_b32 v4, v4, v3
	;; [unrolled: 11-line block ×4, first 2 shown]
	v_cmp_lt_u32_e32 vcc, v6, v5
	s_waitcnt lgkmcnt(0)
	v_add_f32_e32 v4, v3, v4
	v_cndmask_b32_e32 v3, v3, v4, vcc
	v_cmp_gt_u32_e32 vcc, 32, v2
	v_add_u32_e32 v4, 32, v1
	s_nop 0
	v_cndmask_b32_e64 v2, 0, 1, vcc
	v_lshlrev_b32_e32 v2, 5, v2
	v_add_lshl_u32 v2, v2, v1, 2
	ds_bpermute_b32 v2, v2, v3
	v_cmp_lt_u32_e32 vcc, v4, v5
	s_waitcnt lgkmcnt(0)
	v_add_f32_e32 v2, v3, v2
	v_cndmask_b32_e32 v2, v3, v2, vcc
	v_cmp_eq_u32_e32 vcc, 0, v1
	s_and_saveexec_b64 s[4:5], vcc
	s_cbranch_execz .LBB9_14
; %bb.13:
	v_lshrrev_b32_e32 v3, 4, v0
	v_and_b32_e32 v3, 60, v3
	ds_write_b32 v3, v2
.LBB9_14:
	s_or_b64 exec, exec, s[4:5]
	v_cmp_gt_u32_e32 vcc, 16, v0
	s_waitcnt lgkmcnt(0)
	s_barrier
	s_and_saveexec_b64 s[6:7], vcc
	s_cbranch_execz .LBB9_16
; %bb.15:
	v_lshlrev_b32_e32 v2, 2, v1
	ds_read_b32 v2, v2
	v_and_b32_e32 v3, 15, v1
	v_cmp_ne_u32_e32 vcc, 15, v3
	s_add_i32 s4, s16, 63
	s_lshr_b32 s10, s4, 6
	v_addc_co_u32_e32 v4, vcc, 0, v1, vcc
	v_lshlrev_b32_e32 v4, 2, v4
	s_waitcnt lgkmcnt(0)
	ds_bpermute_b32 v4, v4, v2
	v_add_u32_e32 v5, 1, v3
	v_cmp_gt_u32_e64 s[4:5], 14, v3
	v_cmp_gt_u32_e32 vcc, s10, v5
	v_add_u32_e32 v6, 2, v3
	v_cndmask_b32_e64 v5, 0, 1, s[4:5]
	s_waitcnt lgkmcnt(0)
	v_add_f32_e32 v4, v2, v4
	v_lshlrev_b32_e32 v5, 1, v5
	v_cndmask_b32_e32 v4, v2, v4, vcc
	v_add_lshl_u32 v5, v5, v1, 2
	ds_bpermute_b32 v5, v5, v4
	v_cmp_gt_u32_e64 s[4:5], s10, v6
	v_add_u32_e32 v6, 4, v3
	s_waitcnt lgkmcnt(0)
	v_add_f32_e32 v5, v4, v5
	v_cndmask_b32_e64 v4, v4, v5, s[4:5]
	v_cmp_gt_u32_e64 s[4:5], 12, v3
	s_nop 1
	v_cndmask_b32_e64 v5, 0, 1, s[4:5]
	v_lshlrev_b32_e32 v5, 2, v5
	v_add_lshl_u32 v5, v5, v1, 2
	ds_bpermute_b32 v5, v5, v4
	v_cmp_gt_u32_e64 s[4:5], s10, v6
	s_waitcnt lgkmcnt(0)
	v_add_f32_e32 v5, v4, v5
	v_cndmask_b32_e64 v4, v4, v5, s[4:5]
	v_cmp_gt_u32_e64 s[4:5], 8, v3
	v_add_u32_e32 v3, 8, v3
	s_nop 0
	v_cndmask_b32_e64 v5, 0, 1, s[4:5]
	v_lshlrev_b32_e32 v5, 3, v5
	v_add_lshl_u32 v1, v5, v1, 2
	ds_bpermute_b32 v1, v1, v4
	v_cmp_gt_u32_e64 s[4:5], s10, v3
	s_waitcnt lgkmcnt(0)
	v_add_f32_e32 v1, v4, v1
	v_cndmask_b32_e64 v1, v4, v1, s[4:5]
	v_cndmask_b32_e32 v2, v2, v1, vcc
.LBB9_16:
	s_or_b64 exec, exec, s[6:7]
	v_cmp_eq_u32_e32 vcc, 0, v0
	s_and_saveexec_b64 s[4:5], vcc
	s_cbranch_execz .LBB9_18
; %bb.17:
	v_cvt_f32_i32_e32 v1, s3
	s_load_dword s10, s[0:1], 0x28
	v_div_scale_f32 v3, s[6:7], v1, v1, v2
	v_rcp_f32_e32 v4, v3
	v_div_scale_f32 v5, vcc, v2, v1, v2
	s_mov_b32 s6, 0x800000
	v_fma_f32 v6, -v3, v4, 1.0
	v_fmac_f32_e32 v4, v6, v4
	v_mul_f32_e32 v6, v5, v4
	v_fma_f32 v7, -v3, v6, v5
	v_fmac_f32_e32 v6, v7, v4
	v_fma_f32 v3, -v3, v6, v5
	v_div_fmas_f32 v3, v3, v4, v6
	v_div_fixup_f32 v1, v3, v1, v2
	s_waitcnt lgkmcnt(0)
	v_add_f32_e32 v1, s10, v1
	v_mul_f32_e32 v2, 0x4b800000, v1
	v_cmp_gt_f32_e32 vcc, s6, v1
	s_nop 1
	v_cndmask_b32_e32 v1, v1, v2, vcc
	v_rsq_f32_e32 v1, v1
	s_nop 0
	v_mul_f32_e32 v2, 0x45800000, v1
	v_cndmask_b32_e32 v1, v1, v2, vcc
	v_mov_b32_e32 v2, 0
	ds_write_b32 v2, v1 offset:64
.LBB9_18:
	s_or_b64 exec, exec, s[4:5]
	v_cmp_gt_i32_e32 vcc, s3, v0
	s_waitcnt lgkmcnt(0)
	s_barrier
	s_and_saveexec_b64 s[4:5], vcc
	s_cbranch_execz .LBB9_21
; %bb.19:
	s_load_dwordx4 s[4:7], s[0:1], 0x18
	s_load_dwordx2 s[10:11], s[0:1], 0x0
	v_mov_b32_e32 v1, 0
	ds_read_b32 v2, v1 offset:64
	s_mul_i32 s2, s2, s3
	s_waitcnt lgkmcnt(0)
	s_load_dword s14, s[6:7], 0x0
	s_mov_b64 s[0:1], 0
	s_mov_b32 s6, 0x7f800000
	s_mov_b32 s7, 0x43700000
	s_waitcnt lgkmcnt(0)
	v_div_scale_f32 v3, s[12:13], s14, s14, 1.0
	v_rcp_f32_e32 v4, v3
	v_div_scale_f32 v1, vcc, 1.0, s14, 1.0
	v_fma_f32 v5, -v3, v4, 1.0
	v_fmac_f32_e32 v4, v5, v4
	v_mul_f32_e32 v5, v1, v4
	v_fma_f32 v6, -v3, v5, v1
	v_fmac_f32_e32 v5, v6, v4
	v_fma_f32 v1, -v3, v5, v1
	v_div_fmas_f32 v1, v1, v4, v5
	v_div_fixup_f32 v3, v1, s14, 1.0
	v_mov_b32_e32 v4, 0xc3700000
.LBB9_20:                               ; =>This Inner Loop Header: Depth=1
	v_ashrrev_i32_e32 v1, 31, v0
	v_lshlrev_b64 v[6:7], 2, v[0:1]
	v_lshl_add_u64 v[8:9], s[8:9], 0, v[6:7]
	global_load_dword v1, v[8:9], off
	v_lshl_add_u64 v[6:7], s[4:5], 0, v[6:7]
	global_load_dword v5, v[6:7], off
	v_mov_b32_e32 v6, 0
	s_waitcnt vmcnt(1)
	v_mul_f32_e32 v1, v1, v2
	s_waitcnt vmcnt(0)
	v_mul_f32_e32 v1, v5, v1
	v_mul_f32_e32 v1, v3, v1
	v_min_f32_e32 v1, 0x43600000, v1
	v_max_f32_e32 v1, 0xc3600000, v1
	v_med3_f32 v5, v1, s7, v4
	v_cmp_nlg_f32_e64 vcc, |v1|, s6
	s_nop 1
	v_cndmask_b32_e32 v1, v5, v1, vcc
	v_cvt_pk_fp8_f32 v6, v1, v1
	v_add_u32_e32 v1, s2, v0
	v_add_u32_e32 v0, s16, v0
	v_cmp_le_i32_e32 vcc, s3, v0
	s_or_b64 s[0:1], vcc, s[0:1]
	global_store_byte v1, v6, s[10:11]
	s_andn2_b64 exec, exec, s[0:1]
	s_cbranch_execnz .LBB9_20
.LBB9_21:
	s_endpgm
	.section	.rodata,"a",@progbits
	.p2align	6, 0x0
	.amdhsa_kernel _ZN4vllm32rms_norm_static_fp8_quant_kernelIfN3c1015Float8_e4m3fnuzELi1EEEvPT0_PKT_iS7_PKffii
		.amdhsa_group_segment_fixed_size 68
		.amdhsa_private_segment_fixed_size 0
		.amdhsa_kernarg_size 312
		.amdhsa_user_sgpr_count 2
		.amdhsa_user_sgpr_dispatch_ptr 0
		.amdhsa_user_sgpr_queue_ptr 0
		.amdhsa_user_sgpr_kernarg_segment_ptr 1
		.amdhsa_user_sgpr_dispatch_id 0
		.amdhsa_user_sgpr_kernarg_preload_length 0
		.amdhsa_user_sgpr_kernarg_preload_offset 0
		.amdhsa_user_sgpr_private_segment_size 0
		.amdhsa_uses_dynamic_stack 0
		.amdhsa_enable_private_segment 0
		.amdhsa_system_sgpr_workgroup_id_x 1
		.amdhsa_system_sgpr_workgroup_id_y 0
		.amdhsa_system_sgpr_workgroup_id_z 0
		.amdhsa_system_sgpr_workgroup_info 0
		.amdhsa_system_vgpr_workitem_id 0
		.amdhsa_next_free_vgpr 10
		.amdhsa_next_free_sgpr 19
		.amdhsa_accum_offset 12
		.amdhsa_reserve_vcc 1
		.amdhsa_float_round_mode_32 0
		.amdhsa_float_round_mode_16_64 0
		.amdhsa_float_denorm_mode_32 3
		.amdhsa_float_denorm_mode_16_64 3
		.amdhsa_dx10_clamp 1
		.amdhsa_ieee_mode 1
		.amdhsa_fp16_overflow 0
		.amdhsa_tg_split 0
		.amdhsa_exception_fp_ieee_invalid_op 0
		.amdhsa_exception_fp_denorm_src 0
		.amdhsa_exception_fp_ieee_div_zero 0
		.amdhsa_exception_fp_ieee_overflow 0
		.amdhsa_exception_fp_ieee_underflow 0
		.amdhsa_exception_fp_ieee_inexact 0
		.amdhsa_exception_int_div_zero 0
	.end_amdhsa_kernel
	.section	.text._ZN4vllm32rms_norm_static_fp8_quant_kernelIfN3c1015Float8_e4m3fnuzELi1EEEvPT0_PKT_iS7_PKffii,"axG",@progbits,_ZN4vllm32rms_norm_static_fp8_quant_kernelIfN3c1015Float8_e4m3fnuzELi1EEEvPT0_PKT_iS7_PKffii,comdat
.Lfunc_end9:
	.size	_ZN4vllm32rms_norm_static_fp8_quant_kernelIfN3c1015Float8_e4m3fnuzELi1EEEvPT0_PKT_iS7_PKffii, .Lfunc_end9-_ZN4vllm32rms_norm_static_fp8_quant_kernelIfN3c1015Float8_e4m3fnuzELi1EEEvPT0_PKT_iS7_PKffii
                                        ; -- End function
	.section	.AMDGPU.csdata,"",@progbits
; Kernel info:
; codeLenInByte = 1508
; NumSgprs: 25
; NumVgprs: 10
; NumAgprs: 0
; TotalNumVgprs: 10
; ScratchSize: 0
; MemoryBound: 0
; FloatMode: 240
; IeeeMode: 1
; LDSByteSize: 68 bytes/workgroup (compile time only)
; SGPRBlocks: 3
; VGPRBlocks: 1
; NumSGPRsForWavesPerEU: 25
; NumVGPRsForWavesPerEU: 10
; AccumOffset: 12
; Occupancy: 8
; WaveLimiterHint : 0
; COMPUTE_PGM_RSRC2:SCRATCH_EN: 0
; COMPUTE_PGM_RSRC2:USER_SGPR: 2
; COMPUTE_PGM_RSRC2:TRAP_HANDLER: 0
; COMPUTE_PGM_RSRC2:TGID_X_EN: 1
; COMPUTE_PGM_RSRC2:TGID_Y_EN: 0
; COMPUTE_PGM_RSRC2:TGID_Z_EN: 0
; COMPUTE_PGM_RSRC2:TIDIG_COMP_CNT: 0
; COMPUTE_PGM_RSRC3_GFX90A:ACCUM_OFFSET: 2
; COMPUTE_PGM_RSRC3_GFX90A:TG_SPLIT: 0
	.section	.text._ZN4vllm32rms_norm_static_fp8_quant_kernelIN3c104HalfENS1_13Float8_e4m3fnELi16EEEvPT0_PKT_iS8_PKffii,"axG",@progbits,_ZN4vllm32rms_norm_static_fp8_quant_kernelIN3c104HalfENS1_13Float8_e4m3fnELi16EEEvPT0_PKT_iS8_PKffii,comdat
	.protected	_ZN4vllm32rms_norm_static_fp8_quant_kernelIN3c104HalfENS1_13Float8_e4m3fnELi16EEEvPT0_PKT_iS8_PKffii ; -- Begin function _ZN4vllm32rms_norm_static_fp8_quant_kernelIN3c104HalfENS1_13Float8_e4m3fnELi16EEEvPT0_PKT_iS8_PKffii
	.globl	_ZN4vllm32rms_norm_static_fp8_quant_kernelIN3c104HalfENS1_13Float8_e4m3fnELi16EEEvPT0_PKT_iS8_PKffii
	.p2align	8
	.type	_ZN4vllm32rms_norm_static_fp8_quant_kernelIN3c104HalfENS1_13Float8_e4m3fnELi16EEEvPT0_PKT_iS8_PKffii,@function
_ZN4vllm32rms_norm_static_fp8_quant_kernelIN3c104HalfENS1_13Float8_e4m3fnELi16EEEvPT0_PKT_iS8_PKffii: ; @_ZN4vllm32rms_norm_static_fp8_quant_kernelIN3c104HalfENS1_13Float8_e4m3fnELi16EEEvPT0_PKT_iS8_PKffii
; %bb.0:
	s_load_dword s6, s[0:1], 0x10
	s_load_dwordx2 s[4:5], s[0:1], 0x8
	s_load_dword s3, s[0:1], 0x30
	s_load_dword s12, s[0:1], 0x44
	s_mov_b32 s11, 0
	s_waitcnt lgkmcnt(0)
	s_mul_i32 s10, s2, s6
	s_lshl_b64 s[6:7], s[10:11], 1
	s_add_u32 s8, s4, s6
	s_addc_u32 s9, s5, s7
	s_and_b32 s18, s12, 0xffff
	s_and_b32 s10, s8, 31
	s_cmp_lg_u64 s[10:11], 0
	s_cselect_b64 s[10:11], -1, 0
	s_and_b32 s12, s3, 15
	s_cmp_lg_u32 s12, 0
	s_cselect_b64 s[12:13], -1, 0
	s_or_b64 s[10:11], s[10:11], s[12:13]
	s_and_b64 vcc, exec, s[10:11]
	s_cbranch_vccz .LBB10_14
; %bb.1:
	s_sub_i32 s10, 0, s8
	s_bfe_u32 s10, s10, 0x40001
	s_min_i32 s10, s10, s3
	v_cmp_gt_i32_e32 vcc, s10, v0
	v_mov_b32_e32 v3, 0
	s_and_saveexec_b64 s[12:13], vcc
	s_cbranch_execz .LBB10_5
; %bb.2:
	s_add_u32 s16, s4, s6
	v_lshlrev_b32_e32 v2, 1, v0
	v_mov_b32_e32 v3, 0
	s_addc_u32 s17, s5, s7
	s_mov_b32 s15, 0
	v_lshl_add_u64 v[4:5], s[16:17], 0, v[2:3]
	s_lshl_b32 s14, s18, 1
	s_mov_b64 s[16:17], 0
	v_mov_b32_e32 v1, v0
.LBB10_3:                               ; =>This Inner Loop Header: Depth=1
	global_load_ushort v2, v[4:5], off
	v_add_u32_e32 v1, s18, v1
	v_cmp_le_i32_e32 vcc, s10, v1
	v_lshl_add_u64 v[4:5], v[4:5], 0, s[14:15]
	s_or_b64 s[16:17], vcc, s[16:17]
	s_waitcnt vmcnt(0)
	v_fma_mix_f32 v3, v2, v2, v3 op_sel_hi:[1,1,0]
	s_andn2_b64 exec, exec, s[16:17]
	s_cbranch_execnz .LBB10_3
; %bb.4:
	s_or_b64 exec, exec, s[16:17]
.LBB10_5:
	s_or_b64 exec, exec, s[12:13]
	s_sub_i32 s19, s3, s10
	s_ashr_i32 s12, s19, 31
	s_lshr_b32 s12, s12, 28
	s_add_i32 s12, s19, s12
	s_ashr_i32 s20, s12, 4
	s_ashr_i32 s11, s10, 31
	v_cmp_gt_i32_e32 vcc, s20, v0
	s_and_saveexec_b64 s[12:13], vcc
	s_cbranch_execz .LBB10_9
; %bb.6:
	s_lshl_b64 s[16:17], s[10:11], 1
	s_add_u32 s14, s4, s6
	s_addc_u32 s21, s5, s7
	s_add_u32 s16, s14, s16
	v_lshlrev_b32_e32 v4, 5, v0
	v_mov_b32_e32 v5, 0
	s_addc_u32 s17, s21, s17
	s_mov_b32 s15, 0
	v_lshl_add_u64 v[4:5], s[16:17], 0, v[4:5]
	s_lshl_b32 s14, s18, 5
	s_mov_b64 s[16:17], 0
	v_mov_b32_e32 v1, v0
.LBB10_7:                               ; =>This Inner Loop Header: Depth=1
	global_load_dwordx4 v[6:9], v[4:5], off
	global_load_dwordx4 v[10:13], v[4:5], off offset:16
	v_add_u32_e32 v1, s18, v1
	v_cmp_le_i32_e32 vcc, s20, v1
	v_lshl_add_u64 v[4:5], v[4:5], 0, s[14:15]
	s_or_b64 s[16:17], vcc, s[16:17]
	s_waitcnt vmcnt(1)
	v_fma_mix_f32 v2, v6, v6, v3 op_sel_hi:[1,1,0]
	s_nop 0
	v_fma_mix_f32 v2, v6, v6, v2 op_sel:[1,1,0] op_sel_hi:[1,1,0]
	s_nop 0
	v_fma_mix_f32 v2, v7, v7, v2 op_sel_hi:[1,1,0]
	s_nop 0
	v_fma_mix_f32 v2, v7, v7, v2 op_sel:[1,1,0] op_sel_hi:[1,1,0]
	s_nop 0
	;; [unrolled: 4-line block ×3, first 2 shown]
	v_fma_mix_f32 v2, v9, v9, v2 op_sel_hi:[1,1,0]
	s_nop 0
	v_fma_mix_f32 v2, v9, v9, v2 op_sel:[1,1,0] op_sel_hi:[1,1,0]
	s_waitcnt vmcnt(0)
	v_fma_mix_f32 v2, v10, v10, v2 op_sel_hi:[1,1,0]
	s_nop 0
	v_fma_mix_f32 v2, v10, v10, v2 op_sel:[1,1,0] op_sel_hi:[1,1,0]
	s_nop 0
	v_fma_mix_f32 v2, v11, v11, v2 op_sel_hi:[1,1,0]
	s_nop 0
	v_fma_mix_f32 v2, v11, v11, v2 op_sel:[1,1,0] op_sel_hi:[1,1,0]
	s_nop 0
	;; [unrolled: 4-line block ×3, first 2 shown]
	v_fma_mix_f32 v2, v13, v13, v2 op_sel_hi:[1,1,0]
	s_nop 0
	v_fma_mix_f32 v3, v13, v13, v2 op_sel:[1,1,0] op_sel_hi:[1,1,0]
	s_andn2_b64 exec, exec, s[16:17]
	s_cbranch_execnz .LBB10_7
; %bb.8:
	s_or_b64 exec, exec, s[16:17]
.LBB10_9:
	s_or_b64 exec, exec, s[12:13]
	v_lshl_add_u32 v4, s20, 4, v0
	v_cmp_gt_i32_e32 vcc, s19, v4
	s_and_saveexec_b64 s[12:13], vcc
	s_cbranch_execz .LBB10_13
; %bb.10:
	s_lshl_b64 s[10:11], s[10:11], 1
	s_add_u32 s14, s4, s6
	s_addc_u32 s15, s5, s7
	s_add_u32 s10, s14, s10
	v_ashrrev_i32_e32 v5, 31, v4
	s_addc_u32 s11, s15, s11
	v_lshl_add_u64 v[6:7], v[4:5], 1, s[10:11]
	s_lshl_b32 s10, s18, 1
	s_mov_b32 s11, 0
	s_mov_b64 s[14:15], 0
.LBB10_11:                              ; =>This Inner Loop Header: Depth=1
	global_load_ushort v1, v[6:7], off
	v_add_u32_e32 v4, s18, v4
	v_cmp_le_i32_e32 vcc, s19, v4
	v_lshl_add_u64 v[6:7], v[6:7], 0, s[10:11]
	s_or_b64 s[14:15], vcc, s[14:15]
	s_waitcnt vmcnt(0)
	v_fma_mix_f32 v3, v1, v1, v3 op_sel_hi:[1,1,0]
	s_andn2_b64 exec, exec, s[14:15]
	s_cbranch_execnz .LBB10_11
; %bb.12:
	s_or_b64 exec, exec, s[14:15]
.LBB10_13:
	s_or_b64 exec, exec, s[12:13]
	s_branch .LBB10_20
.LBB10_14:
                                        ; implicit-def: $vgpr3
	s_cbranch_execz .LBB10_20
; %bb.15:
	s_ashr_i32 s14, s3, 4
	v_cmp_gt_i32_e32 vcc, s14, v0
	v_mov_b32_e32 v3, 0
	s_and_saveexec_b64 s[10:11], vcc
	s_cbranch_execz .LBB10_19
; %bb.16:
	s_add_u32 s4, s4, s6
	v_lshlrev_b32_e32 v2, 5, v0
	v_mov_b32_e32 v3, 0
	s_addc_u32 s5, s5, s7
	s_mov_b32 s13, 0
	v_lshl_add_u64 v[4:5], s[4:5], 0, v[2:3]
	s_lshl_b32 s12, s18, 5
	s_mov_b64 s[4:5], 0
	v_mov_b32_e32 v1, v0
.LBB10_17:                              ; =>This Inner Loop Header: Depth=1
	global_load_dwordx4 v[6:9], v[4:5], off
	global_load_dwordx4 v[10:13], v[4:5], off offset:16
	v_add_u32_e32 v1, s18, v1
	v_cmp_le_i32_e32 vcc, s14, v1
	v_lshl_add_u64 v[4:5], v[4:5], 0, s[12:13]
	s_or_b64 s[4:5], vcc, s[4:5]
	s_waitcnt vmcnt(1)
	v_fma_mix_f32 v2, v6, v6, v3 op_sel_hi:[1,1,0]
	s_nop 0
	v_fma_mix_f32 v2, v6, v6, v2 op_sel:[1,1,0] op_sel_hi:[1,1,0]
	s_nop 0
	v_fma_mix_f32 v2, v7, v7, v2 op_sel_hi:[1,1,0]
	s_nop 0
	v_fma_mix_f32 v2, v7, v7, v2 op_sel:[1,1,0] op_sel_hi:[1,1,0]
	s_nop 0
	;; [unrolled: 4-line block ×3, first 2 shown]
	v_fma_mix_f32 v2, v9, v9, v2 op_sel_hi:[1,1,0]
	s_nop 0
	v_fma_mix_f32 v2, v9, v9, v2 op_sel:[1,1,0] op_sel_hi:[1,1,0]
	s_waitcnt vmcnt(0)
	v_fma_mix_f32 v2, v10, v10, v2 op_sel_hi:[1,1,0]
	s_nop 0
	v_fma_mix_f32 v2, v10, v10, v2 op_sel:[1,1,0] op_sel_hi:[1,1,0]
	s_nop 0
	v_fma_mix_f32 v2, v11, v11, v2 op_sel_hi:[1,1,0]
	s_nop 0
	v_fma_mix_f32 v2, v11, v11, v2 op_sel:[1,1,0] op_sel_hi:[1,1,0]
	s_nop 0
	;; [unrolled: 4-line block ×3, first 2 shown]
	v_fma_mix_f32 v2, v13, v13, v2 op_sel_hi:[1,1,0]
	s_nop 0
	v_fma_mix_f32 v3, v13, v13, v2 op_sel:[1,1,0] op_sel_hi:[1,1,0]
	s_andn2_b64 exec, exec, s[4:5]
	s_cbranch_execnz .LBB10_17
; %bb.18:
	s_or_b64 exec, exec, s[4:5]
.LBB10_19:
	s_or_b64 exec, exec, s[10:11]
.LBB10_20:
	v_mbcnt_lo_u32_b32 v1, -1, 0
	v_mbcnt_hi_u32_b32 v1, -1, v1
	v_and_b32_e32 v2, 63, v1
	v_cmp_ne_u32_e32 vcc, 63, v2
	v_and_b32_e32 v5, 0x3c0, v0
	v_sub_u32_e64 v5, s18, v5 clamp
	v_addc_co_u32_e32 v4, vcc, 0, v1, vcc
	v_lshlrev_b32_e32 v4, 2, v4
	ds_bpermute_b32 v4, v4, v3
	v_add_u32_e32 v6, 1, v1
	v_cmp_lt_u32_e32 vcc, v6, v5
	v_add_u32_e32 v6, 2, v1
	s_waitcnt lgkmcnt(0)
	v_add_f32_e32 v4, v3, v4
	v_cndmask_b32_e32 v3, v3, v4, vcc
	v_cmp_gt_u32_e32 vcc, 62, v2
	s_nop 1
	v_cndmask_b32_e64 v4, 0, 1, vcc
	v_lshlrev_b32_e32 v4, 1, v4
	v_add_lshl_u32 v4, v4, v1, 2
	ds_bpermute_b32 v4, v4, v3
	v_cmp_lt_u32_e32 vcc, v6, v5
	v_add_u32_e32 v6, 4, v1
	s_waitcnt lgkmcnt(0)
	v_add_f32_e32 v4, v3, v4
	v_cndmask_b32_e32 v3, v3, v4, vcc
	v_cmp_gt_u32_e32 vcc, 60, v2
	s_nop 1
	v_cndmask_b32_e64 v4, 0, 1, vcc
	v_lshlrev_b32_e32 v4, 2, v4
	v_add_lshl_u32 v4, v4, v1, 2
	ds_bpermute_b32 v4, v4, v3
	;; [unrolled: 11-line block ×4, first 2 shown]
	v_cmp_lt_u32_e32 vcc, v6, v5
	s_waitcnt lgkmcnt(0)
	v_add_f32_e32 v4, v3, v4
	v_cndmask_b32_e32 v3, v3, v4, vcc
	v_cmp_gt_u32_e32 vcc, 32, v2
	v_add_u32_e32 v4, 32, v1
	s_nop 0
	v_cndmask_b32_e64 v2, 0, 1, vcc
	v_lshlrev_b32_e32 v2, 5, v2
	v_add_lshl_u32 v2, v2, v1, 2
	ds_bpermute_b32 v2, v2, v3
	v_cmp_lt_u32_e32 vcc, v4, v5
	s_waitcnt lgkmcnt(0)
	v_add_f32_e32 v2, v3, v2
	v_cndmask_b32_e32 v2, v3, v2, vcc
	v_cmp_eq_u32_e32 vcc, 0, v1
	s_and_saveexec_b64 s[4:5], vcc
	s_cbranch_execz .LBB10_22
; %bb.21:
	v_lshrrev_b32_e32 v3, 4, v0
	v_and_b32_e32 v3, 60, v3
	ds_write_b32 v3, v2
.LBB10_22:
	s_or_b64 exec, exec, s[4:5]
	v_cmp_gt_u32_e32 vcc, 16, v0
	s_waitcnt lgkmcnt(0)
	s_barrier
	s_and_saveexec_b64 s[6:7], vcc
	s_cbranch_execz .LBB10_24
; %bb.23:
	v_lshlrev_b32_e32 v2, 2, v1
	ds_read_b32 v2, v2
	v_and_b32_e32 v3, 15, v1
	v_cmp_ne_u32_e32 vcc, 15, v3
	s_add_i32 s4, s18, 63
	s_lshr_b32 s10, s4, 6
	v_addc_co_u32_e32 v4, vcc, 0, v1, vcc
	v_lshlrev_b32_e32 v4, 2, v4
	s_waitcnt lgkmcnt(0)
	ds_bpermute_b32 v4, v4, v2
	v_add_u32_e32 v5, 1, v3
	v_cmp_gt_u32_e64 s[4:5], 14, v3
	v_cmp_gt_u32_e32 vcc, s10, v5
	v_add_u32_e32 v6, 2, v3
	v_cndmask_b32_e64 v5, 0, 1, s[4:5]
	s_waitcnt lgkmcnt(0)
	v_add_f32_e32 v4, v2, v4
	v_lshlrev_b32_e32 v5, 1, v5
	v_cndmask_b32_e32 v4, v2, v4, vcc
	v_add_lshl_u32 v5, v5, v1, 2
	ds_bpermute_b32 v5, v5, v4
	v_cmp_gt_u32_e64 s[4:5], s10, v6
	v_add_u32_e32 v6, 4, v3
	s_waitcnt lgkmcnt(0)
	v_add_f32_e32 v5, v4, v5
	v_cndmask_b32_e64 v4, v4, v5, s[4:5]
	v_cmp_gt_u32_e64 s[4:5], 12, v3
	s_nop 1
	v_cndmask_b32_e64 v5, 0, 1, s[4:5]
	v_lshlrev_b32_e32 v5, 2, v5
	v_add_lshl_u32 v5, v5, v1, 2
	ds_bpermute_b32 v5, v5, v4
	v_cmp_gt_u32_e64 s[4:5], s10, v6
	s_waitcnt lgkmcnt(0)
	v_add_f32_e32 v5, v4, v5
	v_cndmask_b32_e64 v4, v4, v5, s[4:5]
	v_cmp_gt_u32_e64 s[4:5], 8, v3
	v_add_u32_e32 v3, 8, v3
	s_nop 0
	v_cndmask_b32_e64 v5, 0, 1, s[4:5]
	v_lshlrev_b32_e32 v5, 3, v5
	v_add_lshl_u32 v1, v5, v1, 2
	ds_bpermute_b32 v1, v1, v4
	v_cmp_gt_u32_e64 s[4:5], s10, v3
	s_waitcnt lgkmcnt(0)
	v_add_f32_e32 v1, v4, v1
	v_cndmask_b32_e64 v1, v4, v1, s[4:5]
	v_cndmask_b32_e32 v2, v2, v1, vcc
.LBB10_24:
	s_or_b64 exec, exec, s[6:7]
	v_cmp_eq_u32_e32 vcc, 0, v0
	s_and_saveexec_b64 s[4:5], vcc
	s_cbranch_execz .LBB10_26
; %bb.25:
	v_cvt_f32_i32_e32 v1, s3
	s_load_dword s10, s[0:1], 0x28
	v_div_scale_f32 v3, s[6:7], v1, v1, v2
	v_rcp_f32_e32 v4, v3
	v_div_scale_f32 v5, vcc, v2, v1, v2
	s_mov_b32 s6, 0x800000
	v_fma_f32 v6, -v3, v4, 1.0
	v_fmac_f32_e32 v4, v6, v4
	v_mul_f32_e32 v6, v5, v4
	v_fma_f32 v7, -v3, v6, v5
	v_fmac_f32_e32 v6, v7, v4
	v_fma_f32 v3, -v3, v6, v5
	v_div_fmas_f32 v3, v3, v4, v6
	v_div_fixup_f32 v1, v3, v1, v2
	s_waitcnt lgkmcnt(0)
	v_add_f32_e32 v1, s10, v1
	v_mul_f32_e32 v2, 0x4b800000, v1
	v_cmp_gt_f32_e32 vcc, s6, v1
	s_nop 1
	v_cndmask_b32_e32 v1, v1, v2, vcc
	v_rsq_f32_e32 v1, v1
	s_nop 0
	v_mul_f32_e32 v2, 0x45800000, v1
	v_cndmask_b32_e32 v1, v1, v2, vcc
	v_mov_b32_e32 v2, 0
	ds_write_b32 v2, v1 offset:64
.LBB10_26:
	s_or_b64 exec, exec, s[4:5]
	s_ashr_i32 s4, s3, 31
	s_lshr_b32 s4, s4, 28
	s_add_i32 s4, s3, s4
	s_ashr_i32 s12, s4, 4
	v_cmp_gt_i32_e32 vcc, s12, v0
	s_waitcnt lgkmcnt(0)
	s_barrier
	s_and_saveexec_b64 s[4:5], vcc
	s_cbranch_execz .LBB10_125
; %bb.27:
	s_load_dwordx4 s[4:7], s[0:1], 0x18
	s_load_dwordx2 s[10:11], s[0:1], 0x0
	s_mul_i32 s2, s2, s3
	v_mov_b32_e32 v19, 0
	ds_read_b32 v1, v19 offset:64
	s_waitcnt lgkmcnt(0)
	s_load_dword s3, s[6:7], 0x0
	s_lshl_b32 s13, s18, 4
	v_lshlrev_b32_e32 v18, 5, v0
	v_lshl_add_u32 v20, v0, 4, s2
	s_lshl_b32 s14, s18, 5
	s_waitcnt lgkmcnt(0)
	v_div_scale_f32 v2, s[0:1], s3, s3, 1.0
	v_rcp_f32_e32 v3, v2
	v_div_scale_f32 v4, vcc, 1.0, s3, 1.0
	s_mov_b64 s[0:1], 0
	v_fma_f32 v5, -v2, v3, 1.0
	v_fmac_f32_e32 v3, v5, v3
	v_mul_f32_e32 v5, v4, v3
	v_fma_f32 v6, -v2, v5, v4
	v_fmac_f32_e32 v5, v6, v3
	v_fma_f32 v2, -v2, v5, v4
	v_div_fmas_f32 v2, v2, v3, v5
	v_div_fixup_f32 v21, v2, s3, 1.0
	s_mov_b32 s15, 0x43f00000
	s_mov_b32 s16, 0x3c7fffff
	;; [unrolled: 1-line block ×4, first 2 shown]
	s_movk_i32 s20, 0x80
	s_branch .LBB10_30
.LBB10_28:                              ;   in Loop: Header=BB10_30 Depth=1
	s_or_b64 exec, exec, s[6:7]
.LBB10_29:                              ;   in Loop: Header=BB10_30 Depth=1
	s_or_b64 exec, exec, s[2:3]
	s_add_u32 s4, s4, s14
	s_addc_u32 s5, s5, 0
	v_add_u32_e32 v0, s18, v0
	s_add_u32 s8, s8, s14
	v_lshrrev_b32_e32 v3, 24, v3
	s_addc_u32 s9, s9, 0
	v_cmp_le_i32_e32 vcc, s12, v0
	v_and_or_b32 v2, v3, s20, v2
	v_add_u32_e32 v3, 15, v20
	s_or_b64 s[0:1], vcc, s[0:1]
	v_add_u32_e32 v20, s13, v20
	global_store_byte v3, v2, s[10:11]
	s_andn2_b64 exec, exec, s[0:1]
	s_cbranch_execz .LBB10_125
.LBB10_30:                              ; =>This Inner Loop Header: Depth=1
	v_lshl_add_u64 v[22:23], s[8:9], 0, v[18:19]
	v_lshl_add_u64 v[24:25], s[4:5], 0, v[18:19]
	global_load_dwordx4 v[10:13], v[22:23], off
	global_load_dwordx4 v[14:17], v[24:25], off
	global_load_dwordx4 v[2:5], v[22:23], off offset:16
	global_load_dwordx4 v[6:9], v[24:25], off offset:16
	v_mov_b32_e32 v24, 0x7f
	s_waitcnt vmcnt(3)
	v_fma_mixlo_f16 v22, v1, v10, 0 op_sel_hi:[0,1,0]
	s_waitcnt vmcnt(2)
	v_mul_f16_e32 v22, v14, v22
	v_cvt_f32_f16_e32 v23, v22
	v_mov_b32_e32 v22, 0x7f
	v_mul_f32_e32 v23, v21, v23
	v_min_f32_e32 v23, 0x43e00000, v23
	v_max_f32_e32 v23, 0xc3e00000, v23
	v_and_b32_e32 v25, 0x7fffffff, v23
	v_cmp_gt_u32_e32 vcc, s15, v25
	s_and_saveexec_b64 s[2:3], vcc
	s_cbranch_execz .LBB10_36
; %bb.31:                               ;   in Loop: Header=BB10_30 Depth=1
	v_cmp_lt_u32_e32 vcc, s16, v25
                                        ; implicit-def: $vgpr24
	s_and_saveexec_b64 s[6:7], vcc
	s_xor_b64 s[6:7], exec, s[6:7]
; %bb.32:                               ;   in Loop: Header=BB10_30 Depth=1
	v_bfe_u32 v24, v23, 20, 1
	v_add3_u32 v24, v23, v24, s17
	v_lshrrev_b32_e32 v24, 20, v24
; %bb.33:                               ;   in Loop: Header=BB10_30 Depth=1
	s_andn2_saveexec_b64 s[6:7], s[6:7]
; %bb.34:                               ;   in Loop: Header=BB10_30 Depth=1
	v_add_f32_e64 v24, |v23|, s19
; %bb.35:                               ;   in Loop: Header=BB10_30 Depth=1
	s_or_b64 exec, exec, s[6:7]
.LBB10_36:                              ;   in Loop: Header=BB10_30 Depth=1
	s_or_b64 exec, exec, s[2:3]
	v_fma_mixlo_f16 v10, v1, v10, 0 op_sel:[0,1,0] op_sel_hi:[0,1,0]
	v_mul_f16_sdwa v10, v14, v10 dst_sel:DWORD dst_unused:UNUSED_PAD src0_sel:WORD_1 src1_sel:DWORD
	v_cvt_f32_f16_e32 v10, v10
	v_lshrrev_b32_e32 v14, 24, v23
	v_and_or_b32 v14, v14, s20, v24
	global_store_byte v20, v14, s[10:11]
	v_mul_f32_e32 v10, v21, v10
	v_min_f32_e32 v10, 0x43e00000, v10
	v_max_f32_e32 v10, 0xc3e00000, v10
	v_and_b32_e32 v14, 0x7fffffff, v10
	v_cmp_gt_u32_e32 vcc, s15, v14
	s_and_saveexec_b64 s[2:3], vcc
	s_cbranch_execz .LBB10_42
; %bb.37:                               ;   in Loop: Header=BB10_30 Depth=1
	v_cmp_lt_u32_e32 vcc, s16, v14
                                        ; implicit-def: $vgpr22
	s_and_saveexec_b64 s[6:7], vcc
	s_xor_b64 s[6:7], exec, s[6:7]
; %bb.38:                               ;   in Loop: Header=BB10_30 Depth=1
	v_bfe_u32 v14, v10, 20, 1
	v_add3_u32 v14, v10, v14, s17
	v_lshrrev_b32_e32 v22, 20, v14
; %bb.39:                               ;   in Loop: Header=BB10_30 Depth=1
	s_andn2_saveexec_b64 s[6:7], s[6:7]
; %bb.40:                               ;   in Loop: Header=BB10_30 Depth=1
	v_add_f32_e64 v22, |v10|, s19
; %bb.41:                               ;   in Loop: Header=BB10_30 Depth=1
	s_or_b64 exec, exec, s[6:7]
.LBB10_42:                              ;   in Loop: Header=BB10_30 Depth=1
	s_or_b64 exec, exec, s[2:3]
	v_fma_mixlo_f16 v14, v1, v11, 0 op_sel_hi:[0,1,0]
	v_mul_f16_e32 v14, v15, v14
	v_cvt_f32_f16_e32 v14, v14
	v_lshrrev_b32_e32 v10, 24, v10
	v_and_or_b32 v10, v10, s20, v22
	v_add_u32_e32 v22, 1, v20
	global_store_byte v22, v10, s[10:11]
	v_mul_f32_e32 v10, v21, v14
	v_min_f32_e32 v10, 0x43e00000, v10
	v_max_f32_e32 v14, 0xc3e00000, v10
	v_and_b32_e32 v23, 0x7fffffff, v14
	v_cmp_gt_u32_e32 vcc, s15, v23
	v_mov_b32_e32 v10, 0x7f
	v_mov_b32_e32 v22, 0x7f
	s_and_saveexec_b64 s[2:3], vcc
	s_cbranch_execz .LBB10_48
; %bb.43:                               ;   in Loop: Header=BB10_30 Depth=1
	v_cmp_lt_u32_e32 vcc, s16, v23
                                        ; implicit-def: $vgpr22
	s_and_saveexec_b64 s[6:7], vcc
	s_xor_b64 s[6:7], exec, s[6:7]
; %bb.44:                               ;   in Loop: Header=BB10_30 Depth=1
	v_bfe_u32 v22, v14, 20, 1
	v_add3_u32 v22, v14, v22, s17
	v_lshrrev_b32_e32 v22, 20, v22
; %bb.45:                               ;   in Loop: Header=BB10_30 Depth=1
	s_andn2_saveexec_b64 s[6:7], s[6:7]
; %bb.46:                               ;   in Loop: Header=BB10_30 Depth=1
	v_add_f32_e64 v22, |v14|, s19
; %bb.47:                               ;   in Loop: Header=BB10_30 Depth=1
	s_or_b64 exec, exec, s[6:7]
.LBB10_48:                              ;   in Loop: Header=BB10_30 Depth=1
	s_or_b64 exec, exec, s[2:3]
	v_fma_mixlo_f16 v11, v1, v11, 0 op_sel:[0,1,0] op_sel_hi:[0,1,0]
	v_mul_f16_sdwa v11, v15, v11 dst_sel:DWORD dst_unused:UNUSED_PAD src0_sel:WORD_1 src1_sel:DWORD
	v_cvt_f32_f16_e32 v11, v11
	v_lshrrev_b32_e32 v14, 24, v14
	v_and_or_b32 v14, v14, s20, v22
	v_add_u32_e32 v15, 2, v20
	v_mul_f32_e32 v11, v21, v11
	v_min_f32_e32 v11, 0x43e00000, v11
	v_max_f32_e32 v11, 0xc3e00000, v11
	global_store_byte v15, v14, s[10:11]
	v_and_b32_e32 v14, 0x7fffffff, v11
	v_cmp_gt_u32_e32 vcc, s15, v14
	s_and_saveexec_b64 s[2:3], vcc
	s_cbranch_execz .LBB10_54
; %bb.49:                               ;   in Loop: Header=BB10_30 Depth=1
	v_cmp_lt_u32_e32 vcc, s16, v14
                                        ; implicit-def: $vgpr10
	s_and_saveexec_b64 s[6:7], vcc
	s_xor_b64 s[6:7], exec, s[6:7]
; %bb.50:                               ;   in Loop: Header=BB10_30 Depth=1
	v_bfe_u32 v10, v11, 20, 1
	v_add3_u32 v10, v11, v10, s17
	v_lshrrev_b32_e32 v10, 20, v10
; %bb.51:                               ;   in Loop: Header=BB10_30 Depth=1
	s_andn2_saveexec_b64 s[6:7], s[6:7]
; %bb.52:                               ;   in Loop: Header=BB10_30 Depth=1
	v_add_f32_e64 v10, |v11|, s19
; %bb.53:                               ;   in Loop: Header=BB10_30 Depth=1
	s_or_b64 exec, exec, s[6:7]
.LBB10_54:                              ;   in Loop: Header=BB10_30 Depth=1
	s_or_b64 exec, exec, s[2:3]
	v_fma_mixlo_f16 v14, v1, v12, 0 op_sel_hi:[0,1,0]
	v_mul_f16_e32 v14, v16, v14
	v_cvt_f32_f16_e32 v14, v14
	v_lshrrev_b32_e32 v11, 24, v11
	v_and_or_b32 v10, v11, s20, v10
	v_add_u32_e32 v11, 3, v20
	global_store_byte v11, v10, s[10:11]
	v_mul_f32_e32 v10, v21, v14
	v_min_f32_e32 v10, 0x43e00000, v10
	v_max_f32_e32 v11, 0xc3e00000, v10
	v_and_b32_e32 v15, 0x7fffffff, v11
	v_cmp_gt_u32_e32 vcc, s15, v15
	v_mov_b32_e32 v10, 0x7f
	v_mov_b32_e32 v14, 0x7f
	s_and_saveexec_b64 s[2:3], vcc
	s_cbranch_execz .LBB10_60
; %bb.55:                               ;   in Loop: Header=BB10_30 Depth=1
	v_cmp_lt_u32_e32 vcc, s16, v15
                                        ; implicit-def: $vgpr14
	s_and_saveexec_b64 s[6:7], vcc
	s_xor_b64 s[6:7], exec, s[6:7]
; %bb.56:                               ;   in Loop: Header=BB10_30 Depth=1
	v_bfe_u32 v14, v11, 20, 1
	v_add3_u32 v14, v11, v14, s17
	v_lshrrev_b32_e32 v14, 20, v14
; %bb.57:                               ;   in Loop: Header=BB10_30 Depth=1
	s_andn2_saveexec_b64 s[6:7], s[6:7]
; %bb.58:                               ;   in Loop: Header=BB10_30 Depth=1
	v_add_f32_e64 v14, |v11|, s19
; %bb.59:                               ;   in Loop: Header=BB10_30 Depth=1
	s_or_b64 exec, exec, s[6:7]
.LBB10_60:                              ;   in Loop: Header=BB10_30 Depth=1
	s_or_b64 exec, exec, s[2:3]
	v_fma_mixlo_f16 v12, v1, v12, 0 op_sel:[0,1,0] op_sel_hi:[0,1,0]
	v_mul_f16_sdwa v12, v16, v12 dst_sel:DWORD dst_unused:UNUSED_PAD src0_sel:WORD_1 src1_sel:DWORD
	v_cvt_f32_f16_e32 v12, v12
	v_lshrrev_b32_e32 v11, 24, v11
	v_and_or_b32 v11, v11, s20, v14
	v_add_u32_e32 v14, 4, v20
	global_store_byte v14, v11, s[10:11]
	v_mul_f32_e32 v11, v21, v12
	v_min_f32_e32 v11, 0x43e00000, v11
	v_max_f32_e32 v11, 0xc3e00000, v11
	v_and_b32_e32 v12, 0x7fffffff, v11
	v_cmp_gt_u32_e32 vcc, s15, v12
	s_and_saveexec_b64 s[2:3], vcc
	s_cbranch_execz .LBB10_66
; %bb.61:                               ;   in Loop: Header=BB10_30 Depth=1
	v_cmp_lt_u32_e32 vcc, s16, v12
                                        ; implicit-def: $vgpr10
	s_and_saveexec_b64 s[6:7], vcc
	s_xor_b64 s[6:7], exec, s[6:7]
; %bb.62:                               ;   in Loop: Header=BB10_30 Depth=1
	v_bfe_u32 v10, v11, 20, 1
	v_add3_u32 v10, v11, v10, s17
	v_lshrrev_b32_e32 v10, 20, v10
; %bb.63:                               ;   in Loop: Header=BB10_30 Depth=1
	s_andn2_saveexec_b64 s[6:7], s[6:7]
; %bb.64:                               ;   in Loop: Header=BB10_30 Depth=1
	v_add_f32_e64 v10, |v11|, s19
; %bb.65:                               ;   in Loop: Header=BB10_30 Depth=1
	s_or_b64 exec, exec, s[6:7]
.LBB10_66:                              ;   in Loop: Header=BB10_30 Depth=1
	s_or_b64 exec, exec, s[2:3]
	v_fma_mixlo_f16 v12, v1, v13, 0 op_sel_hi:[0,1,0]
	v_mul_f16_e32 v12, v17, v12
	v_cvt_f32_f16_e32 v12, v12
	v_lshrrev_b32_e32 v11, 24, v11
	v_and_or_b32 v10, v11, s20, v10
	v_add_u32_e32 v11, 5, v20
	global_store_byte v11, v10, s[10:11]
	v_mul_f32_e32 v10, v21, v12
	v_min_f32_e32 v10, 0x43e00000, v10
	v_max_f32_e32 v11, 0xc3e00000, v10
	v_and_b32_e32 v14, 0x7fffffff, v11
	v_cmp_gt_u32_e32 vcc, s15, v14
	v_mov_b32_e32 v10, 0x7f
	v_mov_b32_e32 v12, 0x7f
	s_and_saveexec_b64 s[2:3], vcc
	s_cbranch_execz .LBB10_72
; %bb.67:                               ;   in Loop: Header=BB10_30 Depth=1
	v_cmp_lt_u32_e32 vcc, s16, v14
                                        ; implicit-def: $vgpr12
	s_and_saveexec_b64 s[6:7], vcc
	s_xor_b64 s[6:7], exec, s[6:7]
; %bb.68:                               ;   in Loop: Header=BB10_30 Depth=1
	v_bfe_u32 v12, v11, 20, 1
	v_add3_u32 v12, v11, v12, s17
	v_lshrrev_b32_e32 v12, 20, v12
; %bb.69:                               ;   in Loop: Header=BB10_30 Depth=1
	s_andn2_saveexec_b64 s[6:7], s[6:7]
; %bb.70:                               ;   in Loop: Header=BB10_30 Depth=1
	v_add_f32_e64 v12, |v11|, s19
; %bb.71:                               ;   in Loop: Header=BB10_30 Depth=1
	s_or_b64 exec, exec, s[6:7]
.LBB10_72:                              ;   in Loop: Header=BB10_30 Depth=1
	s_or_b64 exec, exec, s[2:3]
	v_fma_mixlo_f16 v13, v1, v13, 0 op_sel:[0,1,0] op_sel_hi:[0,1,0]
	v_mul_f16_sdwa v13, v17, v13 dst_sel:DWORD dst_unused:UNUSED_PAD src0_sel:WORD_1 src1_sel:DWORD
	v_cvt_f32_f16_e32 v13, v13
	v_lshrrev_b32_e32 v11, 24, v11
	v_and_or_b32 v11, v11, s20, v12
	v_add_u32_e32 v12, 6, v20
	global_store_byte v12, v11, s[10:11]
	v_mul_f32_e32 v11, v21, v13
	v_min_f32_e32 v11, 0x43e00000, v11
	v_max_f32_e32 v11, 0xc3e00000, v11
	v_and_b32_e32 v12, 0x7fffffff, v11
	v_cmp_gt_u32_e32 vcc, s15, v12
	s_and_saveexec_b64 s[2:3], vcc
	s_cbranch_execz .LBB10_78
; %bb.73:                               ;   in Loop: Header=BB10_30 Depth=1
	v_cmp_lt_u32_e32 vcc, s16, v12
                                        ; implicit-def: $vgpr10
	s_and_saveexec_b64 s[6:7], vcc
	s_xor_b64 s[6:7], exec, s[6:7]
; %bb.74:                               ;   in Loop: Header=BB10_30 Depth=1
	v_bfe_u32 v10, v11, 20, 1
	v_add3_u32 v10, v11, v10, s17
	v_lshrrev_b32_e32 v10, 20, v10
; %bb.75:                               ;   in Loop: Header=BB10_30 Depth=1
	s_andn2_saveexec_b64 s[6:7], s[6:7]
; %bb.76:                               ;   in Loop: Header=BB10_30 Depth=1
	v_add_f32_e64 v10, |v11|, s19
; %bb.77:                               ;   in Loop: Header=BB10_30 Depth=1
	s_or_b64 exec, exec, s[6:7]
.LBB10_78:                              ;   in Loop: Header=BB10_30 Depth=1
	s_or_b64 exec, exec, s[2:3]
	s_waitcnt vmcnt(8)
	v_fma_mixlo_f16 v12, v1, v2, 0 op_sel_hi:[0,1,0]
	s_waitcnt vmcnt(7)
	v_mul_f16_e32 v12, v6, v12
	v_cvt_f32_f16_e32 v12, v12
	v_lshrrev_b32_e32 v11, 24, v11
	v_and_or_b32 v10, v11, s20, v10
	v_add_u32_e32 v11, 7, v20
	global_store_byte v11, v10, s[10:11]
	v_mul_f32_e32 v10, v21, v12
	v_min_f32_e32 v10, 0x43e00000, v10
	v_max_f32_e32 v11, 0xc3e00000, v10
	v_and_b32_e32 v13, 0x7fffffff, v11
	v_cmp_gt_u32_e32 vcc, s15, v13
	v_mov_b32_e32 v10, 0x7f
	v_mov_b32_e32 v12, 0x7f
	s_and_saveexec_b64 s[2:3], vcc
	s_cbranch_execz .LBB10_84
; %bb.79:                               ;   in Loop: Header=BB10_30 Depth=1
	v_cmp_lt_u32_e32 vcc, s16, v13
                                        ; implicit-def: $vgpr12
	s_and_saveexec_b64 s[6:7], vcc
	s_xor_b64 s[6:7], exec, s[6:7]
; %bb.80:                               ;   in Loop: Header=BB10_30 Depth=1
	v_bfe_u32 v12, v11, 20, 1
	v_add3_u32 v12, v11, v12, s17
	v_lshrrev_b32_e32 v12, 20, v12
; %bb.81:                               ;   in Loop: Header=BB10_30 Depth=1
	s_andn2_saveexec_b64 s[6:7], s[6:7]
; %bb.82:                               ;   in Loop: Header=BB10_30 Depth=1
	v_add_f32_e64 v12, |v11|, s19
; %bb.83:                               ;   in Loop: Header=BB10_30 Depth=1
	s_or_b64 exec, exec, s[6:7]
.LBB10_84:                              ;   in Loop: Header=BB10_30 Depth=1
	s_or_b64 exec, exec, s[2:3]
	v_fma_mixlo_f16 v2, v1, v2, 0 op_sel:[0,1,0] op_sel_hi:[0,1,0]
	v_mul_f16_sdwa v2, v6, v2 dst_sel:DWORD dst_unused:UNUSED_PAD src0_sel:WORD_1 src1_sel:DWORD
	v_cvt_f32_f16_e32 v2, v2
	v_lshrrev_b32_e32 v11, 24, v11
	v_and_or_b32 v6, v11, s20, v12
	v_add_u32_e32 v11, 8, v20
	v_mul_f32_e32 v2, v21, v2
	v_min_f32_e32 v2, 0x43e00000, v2
	v_max_f32_e32 v2, 0xc3e00000, v2
	global_store_byte v11, v6, s[10:11]
	v_and_b32_e32 v6, 0x7fffffff, v2
	v_cmp_gt_u32_e32 vcc, s15, v6
	s_and_saveexec_b64 s[2:3], vcc
	s_cbranch_execz .LBB10_90
; %bb.85:                               ;   in Loop: Header=BB10_30 Depth=1
	v_cmp_lt_u32_e32 vcc, s16, v6
                                        ; implicit-def: $vgpr10
	s_and_saveexec_b64 s[6:7], vcc
	s_xor_b64 s[6:7], exec, s[6:7]
; %bb.86:                               ;   in Loop: Header=BB10_30 Depth=1
	v_bfe_u32 v6, v2, 20, 1
	v_add3_u32 v6, v2, v6, s17
	v_lshrrev_b32_e32 v10, 20, v6
; %bb.87:                               ;   in Loop: Header=BB10_30 Depth=1
	s_andn2_saveexec_b64 s[6:7], s[6:7]
; %bb.88:                               ;   in Loop: Header=BB10_30 Depth=1
	v_add_f32_e64 v10, |v2|, s19
; %bb.89:                               ;   in Loop: Header=BB10_30 Depth=1
	s_or_b64 exec, exec, s[6:7]
.LBB10_90:                              ;   in Loop: Header=BB10_30 Depth=1
	s_or_b64 exec, exec, s[2:3]
	v_fma_mixlo_f16 v6, v1, v3, 0 op_sel_hi:[0,1,0]
	v_mul_f16_e32 v6, v7, v6
	v_cvt_f32_f16_e32 v6, v6
	v_lshrrev_b32_e32 v2, 24, v2
	v_and_or_b32 v2, v2, s20, v10
	v_add_u32_e32 v10, 9, v20
	global_store_byte v10, v2, s[10:11]
	v_mul_f32_e32 v2, v21, v6
	v_min_f32_e32 v2, 0x43e00000, v2
	v_max_f32_e32 v6, 0xc3e00000, v2
	v_and_b32_e32 v11, 0x7fffffff, v6
	v_cmp_gt_u32_e32 vcc, s15, v11
	v_mov_b32_e32 v2, 0x7f
	v_mov_b32_e32 v10, 0x7f
	s_and_saveexec_b64 s[2:3], vcc
	s_cbranch_execz .LBB10_96
; %bb.91:                               ;   in Loop: Header=BB10_30 Depth=1
	v_cmp_lt_u32_e32 vcc, s16, v11
                                        ; implicit-def: $vgpr10
	s_and_saveexec_b64 s[6:7], vcc
	s_xor_b64 s[6:7], exec, s[6:7]
; %bb.92:                               ;   in Loop: Header=BB10_30 Depth=1
	v_bfe_u32 v10, v6, 20, 1
	v_add3_u32 v10, v6, v10, s17
	v_lshrrev_b32_e32 v10, 20, v10
; %bb.93:                               ;   in Loop: Header=BB10_30 Depth=1
	s_andn2_saveexec_b64 s[6:7], s[6:7]
; %bb.94:                               ;   in Loop: Header=BB10_30 Depth=1
	v_add_f32_e64 v10, |v6|, s19
; %bb.95:                               ;   in Loop: Header=BB10_30 Depth=1
	s_or_b64 exec, exec, s[6:7]
.LBB10_96:                              ;   in Loop: Header=BB10_30 Depth=1
	s_or_b64 exec, exec, s[2:3]
	v_fma_mixlo_f16 v3, v1, v3, 0 op_sel:[0,1,0] op_sel_hi:[0,1,0]
	v_mul_f16_sdwa v3, v7, v3 dst_sel:DWORD dst_unused:UNUSED_PAD src0_sel:WORD_1 src1_sel:DWORD
	v_cvt_f32_f16_e32 v3, v3
	v_lshrrev_b32_e32 v6, 24, v6
	v_and_or_b32 v6, v6, s20, v10
	v_add_u32_e32 v7, 10, v20
	v_mul_f32_e32 v3, v21, v3
	v_min_f32_e32 v3, 0x43e00000, v3
	v_max_f32_e32 v3, 0xc3e00000, v3
	global_store_byte v7, v6, s[10:11]
	v_and_b32_e32 v6, 0x7fffffff, v3
	v_cmp_gt_u32_e32 vcc, s15, v6
	s_and_saveexec_b64 s[2:3], vcc
	s_cbranch_execz .LBB10_102
; %bb.97:                               ;   in Loop: Header=BB10_30 Depth=1
	v_cmp_lt_u32_e32 vcc, s16, v6
                                        ; implicit-def: $vgpr2
	s_and_saveexec_b64 s[6:7], vcc
	s_xor_b64 s[6:7], exec, s[6:7]
; %bb.98:                               ;   in Loop: Header=BB10_30 Depth=1
	v_bfe_u32 v2, v3, 20, 1
	v_add3_u32 v2, v3, v2, s17
	v_lshrrev_b32_e32 v2, 20, v2
; %bb.99:                               ;   in Loop: Header=BB10_30 Depth=1
	s_andn2_saveexec_b64 s[6:7], s[6:7]
; %bb.100:                              ;   in Loop: Header=BB10_30 Depth=1
	v_add_f32_e64 v2, |v3|, s19
; %bb.101:                              ;   in Loop: Header=BB10_30 Depth=1
	s_or_b64 exec, exec, s[6:7]
.LBB10_102:                             ;   in Loop: Header=BB10_30 Depth=1
	s_or_b64 exec, exec, s[2:3]
	v_fma_mixlo_f16 v6, v1, v4, 0 op_sel_hi:[0,1,0]
	v_mul_f16_e32 v6, v8, v6
	v_cvt_f32_f16_e32 v6, v6
	v_lshrrev_b32_e32 v3, 24, v3
	v_and_or_b32 v2, v3, s20, v2
	v_add_u32_e32 v3, 11, v20
	global_store_byte v3, v2, s[10:11]
	v_mul_f32_e32 v2, v21, v6
	v_min_f32_e32 v2, 0x43e00000, v2
	v_max_f32_e32 v3, 0xc3e00000, v2
	v_and_b32_e32 v7, 0x7fffffff, v3
	v_cmp_gt_u32_e32 vcc, s15, v7
	v_mov_b32_e32 v2, 0x7f
	v_mov_b32_e32 v6, 0x7f
	s_and_saveexec_b64 s[2:3], vcc
	s_cbranch_execz .LBB10_108
; %bb.103:                              ;   in Loop: Header=BB10_30 Depth=1
	v_cmp_lt_u32_e32 vcc, s16, v7
                                        ; implicit-def: $vgpr6
	s_and_saveexec_b64 s[6:7], vcc
	s_xor_b64 s[6:7], exec, s[6:7]
; %bb.104:                              ;   in Loop: Header=BB10_30 Depth=1
	v_bfe_u32 v6, v3, 20, 1
	v_add3_u32 v6, v3, v6, s17
	v_lshrrev_b32_e32 v6, 20, v6
; %bb.105:                              ;   in Loop: Header=BB10_30 Depth=1
	s_andn2_saveexec_b64 s[6:7], s[6:7]
; %bb.106:                              ;   in Loop: Header=BB10_30 Depth=1
	v_add_f32_e64 v6, |v3|, s19
; %bb.107:                              ;   in Loop: Header=BB10_30 Depth=1
	s_or_b64 exec, exec, s[6:7]
.LBB10_108:                             ;   in Loop: Header=BB10_30 Depth=1
	s_or_b64 exec, exec, s[2:3]
	v_fma_mixlo_f16 v4, v1, v4, 0 op_sel:[0,1,0] op_sel_hi:[0,1,0]
	v_mul_f16_sdwa v4, v8, v4 dst_sel:DWORD dst_unused:UNUSED_PAD src0_sel:WORD_1 src1_sel:DWORD
	v_cvt_f32_f16_e32 v4, v4
	v_lshrrev_b32_e32 v3, 24, v3
	v_and_or_b32 v3, v3, s20, v6
	v_add_u32_e32 v6, 12, v20
	global_store_byte v6, v3, s[10:11]
	v_mul_f32_e32 v3, v21, v4
	v_min_f32_e32 v3, 0x43e00000, v3
	v_max_f32_e32 v3, 0xc3e00000, v3
	v_and_b32_e32 v4, 0x7fffffff, v3
	v_cmp_gt_u32_e32 vcc, s15, v4
	s_and_saveexec_b64 s[2:3], vcc
	s_cbranch_execz .LBB10_114
; %bb.109:                              ;   in Loop: Header=BB10_30 Depth=1
	v_cmp_lt_u32_e32 vcc, s16, v4
                                        ; implicit-def: $vgpr2
	s_and_saveexec_b64 s[6:7], vcc
	s_xor_b64 s[6:7], exec, s[6:7]
; %bb.110:                              ;   in Loop: Header=BB10_30 Depth=1
	v_bfe_u32 v2, v3, 20, 1
	v_add3_u32 v2, v3, v2, s17
	v_lshrrev_b32_e32 v2, 20, v2
; %bb.111:                              ;   in Loop: Header=BB10_30 Depth=1
	s_andn2_saveexec_b64 s[6:7], s[6:7]
; %bb.112:                              ;   in Loop: Header=BB10_30 Depth=1
	v_add_f32_e64 v2, |v3|, s19
; %bb.113:                              ;   in Loop: Header=BB10_30 Depth=1
	s_or_b64 exec, exec, s[6:7]
.LBB10_114:                             ;   in Loop: Header=BB10_30 Depth=1
	s_or_b64 exec, exec, s[2:3]
	v_fma_mixlo_f16 v4, v1, v5, 0 op_sel_hi:[0,1,0]
	v_mul_f16_e32 v4, v9, v4
	v_cvt_f32_f16_e32 v4, v4
	v_lshrrev_b32_e32 v3, 24, v3
	v_and_or_b32 v2, v3, s20, v2
	v_add_u32_e32 v3, 13, v20
	global_store_byte v3, v2, s[10:11]
	v_mul_f32_e32 v2, v21, v4
	v_min_f32_e32 v2, 0x43e00000, v2
	v_max_f32_e32 v3, 0xc3e00000, v2
	v_and_b32_e32 v6, 0x7fffffff, v3
	v_cmp_gt_u32_e32 vcc, s15, v6
	v_mov_b32_e32 v2, 0x7f
	v_mov_b32_e32 v4, 0x7f
	s_and_saveexec_b64 s[2:3], vcc
	s_cbranch_execz .LBB10_120
; %bb.115:                              ;   in Loop: Header=BB10_30 Depth=1
	v_cmp_lt_u32_e32 vcc, s16, v6
                                        ; implicit-def: $vgpr4
	s_and_saveexec_b64 s[6:7], vcc
	s_xor_b64 s[6:7], exec, s[6:7]
; %bb.116:                              ;   in Loop: Header=BB10_30 Depth=1
	v_bfe_u32 v4, v3, 20, 1
	v_add3_u32 v4, v3, v4, s17
	v_lshrrev_b32_e32 v4, 20, v4
; %bb.117:                              ;   in Loop: Header=BB10_30 Depth=1
	s_andn2_saveexec_b64 s[6:7], s[6:7]
; %bb.118:                              ;   in Loop: Header=BB10_30 Depth=1
	v_add_f32_e64 v4, |v3|, s19
; %bb.119:                              ;   in Loop: Header=BB10_30 Depth=1
	s_or_b64 exec, exec, s[6:7]
.LBB10_120:                             ;   in Loop: Header=BB10_30 Depth=1
	s_or_b64 exec, exec, s[2:3]
	v_fma_mixlo_f16 v5, v1, v5, 0 op_sel:[0,1,0] op_sel_hi:[0,1,0]
	v_mul_f16_sdwa v5, v9, v5 dst_sel:DWORD dst_unused:UNUSED_PAD src0_sel:WORD_1 src1_sel:DWORD
	v_cvt_f32_f16_e32 v5, v5
	v_lshrrev_b32_e32 v3, 24, v3
	v_and_or_b32 v3, v3, s20, v4
	v_add_u32_e32 v4, 14, v20
	global_store_byte v4, v3, s[10:11]
	v_mul_f32_e32 v3, v21, v5
	v_min_f32_e32 v3, 0x43e00000, v3
	v_max_f32_e32 v3, 0xc3e00000, v3
	v_and_b32_e32 v4, 0x7fffffff, v3
	v_cmp_gt_u32_e32 vcc, s15, v4
	s_and_saveexec_b64 s[2:3], vcc
	s_cbranch_execz .LBB10_29
; %bb.121:                              ;   in Loop: Header=BB10_30 Depth=1
	v_cmp_lt_u32_e32 vcc, s16, v4
                                        ; implicit-def: $vgpr2
	s_and_saveexec_b64 s[6:7], vcc
	s_xor_b64 s[6:7], exec, s[6:7]
; %bb.122:                              ;   in Loop: Header=BB10_30 Depth=1
	v_bfe_u32 v2, v3, 20, 1
	v_add3_u32 v2, v3, v2, s17
	v_lshrrev_b32_e32 v2, 20, v2
; %bb.123:                              ;   in Loop: Header=BB10_30 Depth=1
	s_andn2_saveexec_b64 s[6:7], s[6:7]
	s_cbranch_execz .LBB10_28
; %bb.124:                              ;   in Loop: Header=BB10_30 Depth=1
	v_add_f32_e64 v2, |v3|, s19
	s_branch .LBB10_28
.LBB10_125:
	s_endpgm
	.section	.rodata,"a",@progbits
	.p2align	6, 0x0
	.amdhsa_kernel _ZN4vllm32rms_norm_static_fp8_quant_kernelIN3c104HalfENS1_13Float8_e4m3fnELi16EEEvPT0_PKT_iS8_PKffii
		.amdhsa_group_segment_fixed_size 68
		.amdhsa_private_segment_fixed_size 0
		.amdhsa_kernarg_size 312
		.amdhsa_user_sgpr_count 2
		.amdhsa_user_sgpr_dispatch_ptr 0
		.amdhsa_user_sgpr_queue_ptr 0
		.amdhsa_user_sgpr_kernarg_segment_ptr 1
		.amdhsa_user_sgpr_dispatch_id 0
		.amdhsa_user_sgpr_kernarg_preload_length 0
		.amdhsa_user_sgpr_kernarg_preload_offset 0
		.amdhsa_user_sgpr_private_segment_size 0
		.amdhsa_uses_dynamic_stack 0
		.amdhsa_enable_private_segment 0
		.amdhsa_system_sgpr_workgroup_id_x 1
		.amdhsa_system_sgpr_workgroup_id_y 0
		.amdhsa_system_sgpr_workgroup_id_z 0
		.amdhsa_system_sgpr_workgroup_info 0
		.amdhsa_system_vgpr_workitem_id 0
		.amdhsa_next_free_vgpr 26
		.amdhsa_next_free_sgpr 22
		.amdhsa_accum_offset 28
		.amdhsa_reserve_vcc 1
		.amdhsa_float_round_mode_32 0
		.amdhsa_float_round_mode_16_64 0
		.amdhsa_float_denorm_mode_32 3
		.amdhsa_float_denorm_mode_16_64 3
		.amdhsa_dx10_clamp 1
		.amdhsa_ieee_mode 1
		.amdhsa_fp16_overflow 0
		.amdhsa_tg_split 0
		.amdhsa_exception_fp_ieee_invalid_op 0
		.amdhsa_exception_fp_denorm_src 0
		.amdhsa_exception_fp_ieee_div_zero 0
		.amdhsa_exception_fp_ieee_overflow 0
		.amdhsa_exception_fp_ieee_underflow 0
		.amdhsa_exception_fp_ieee_inexact 0
		.amdhsa_exception_int_div_zero 0
	.end_amdhsa_kernel
	.section	.text._ZN4vllm32rms_norm_static_fp8_quant_kernelIN3c104HalfENS1_13Float8_e4m3fnELi16EEEvPT0_PKT_iS8_PKffii,"axG",@progbits,_ZN4vllm32rms_norm_static_fp8_quant_kernelIN3c104HalfENS1_13Float8_e4m3fnELi16EEEvPT0_PKT_iS8_PKffii,comdat
.Lfunc_end10:
	.size	_ZN4vllm32rms_norm_static_fp8_quant_kernelIN3c104HalfENS1_13Float8_e4m3fnELi16EEEvPT0_PKT_iS8_PKffii, .Lfunc_end10-_ZN4vllm32rms_norm_static_fp8_quant_kernelIN3c104HalfENS1_13Float8_e4m3fnELi16EEEvPT0_PKT_iS8_PKffii
                                        ; -- End function
	.section	.AMDGPU.csdata,"",@progbits
; Kernel info:
; codeLenInByte = 4448
; NumSgprs: 28
; NumVgprs: 26
; NumAgprs: 0
; TotalNumVgprs: 26
; ScratchSize: 0
; MemoryBound: 0
; FloatMode: 240
; IeeeMode: 1
; LDSByteSize: 68 bytes/workgroup (compile time only)
; SGPRBlocks: 3
; VGPRBlocks: 3
; NumSGPRsForWavesPerEU: 28
; NumVGPRsForWavesPerEU: 26
; AccumOffset: 28
; Occupancy: 8
; WaveLimiterHint : 0
; COMPUTE_PGM_RSRC2:SCRATCH_EN: 0
; COMPUTE_PGM_RSRC2:USER_SGPR: 2
; COMPUTE_PGM_RSRC2:TRAP_HANDLER: 0
; COMPUTE_PGM_RSRC2:TGID_X_EN: 1
; COMPUTE_PGM_RSRC2:TGID_Y_EN: 0
; COMPUTE_PGM_RSRC2:TGID_Z_EN: 0
; COMPUTE_PGM_RSRC2:TIDIG_COMP_CNT: 0
; COMPUTE_PGM_RSRC3_GFX90A:ACCUM_OFFSET: 6
; COMPUTE_PGM_RSRC3_GFX90A:TG_SPLIT: 0
	.section	.text._ZN4vllm32rms_norm_static_fp8_quant_kernelIN3c104HalfENS1_13Float8_e4m3fnELi8EEEvPT0_PKT_iS8_PKffii,"axG",@progbits,_ZN4vllm32rms_norm_static_fp8_quant_kernelIN3c104HalfENS1_13Float8_e4m3fnELi8EEEvPT0_PKT_iS8_PKffii,comdat
	.protected	_ZN4vllm32rms_norm_static_fp8_quant_kernelIN3c104HalfENS1_13Float8_e4m3fnELi8EEEvPT0_PKT_iS8_PKffii ; -- Begin function _ZN4vllm32rms_norm_static_fp8_quant_kernelIN3c104HalfENS1_13Float8_e4m3fnELi8EEEvPT0_PKT_iS8_PKffii
	.globl	_ZN4vllm32rms_norm_static_fp8_quant_kernelIN3c104HalfENS1_13Float8_e4m3fnELi8EEEvPT0_PKT_iS8_PKffii
	.p2align	8
	.type	_ZN4vllm32rms_norm_static_fp8_quant_kernelIN3c104HalfENS1_13Float8_e4m3fnELi8EEEvPT0_PKT_iS8_PKffii,@function
_ZN4vllm32rms_norm_static_fp8_quant_kernelIN3c104HalfENS1_13Float8_e4m3fnELi8EEEvPT0_PKT_iS8_PKffii: ; @_ZN4vllm32rms_norm_static_fp8_quant_kernelIN3c104HalfENS1_13Float8_e4m3fnELi8EEEvPT0_PKT_iS8_PKffii
; %bb.0:
	s_load_dword s6, s[0:1], 0x10
	s_load_dwordx2 s[4:5], s[0:1], 0x8
	s_load_dword s3, s[0:1], 0x30
	s_load_dword s12, s[0:1], 0x44
	s_mov_b32 s11, 0
	s_waitcnt lgkmcnt(0)
	s_mul_i32 s10, s2, s6
	s_lshl_b64 s[6:7], s[10:11], 1
	s_add_u32 s8, s4, s6
	s_addc_u32 s9, s5, s7
	s_and_b32 s18, s12, 0xffff
	s_and_b32 s10, s8, 15
	s_cmp_lg_u64 s[10:11], 0
	s_cselect_b64 s[10:11], -1, 0
	s_and_b32 s12, s3, 7
	s_cmp_lg_u32 s12, 0
	s_cselect_b64 s[12:13], -1, 0
	s_or_b64 s[10:11], s[10:11], s[12:13]
	s_and_b64 vcc, exec, s[10:11]
	s_cbranch_vccz .LBB11_14
; %bb.1:
	s_sub_i32 s10, 0, s8
	s_bfe_u32 s10, s10, 0x30001
	s_min_i32 s10, s10, s3
	v_cmp_gt_i32_e32 vcc, s10, v0
	v_mov_b32_e32 v3, 0
	s_and_saveexec_b64 s[12:13], vcc
	s_cbranch_execz .LBB11_5
; %bb.2:
	s_add_u32 s16, s4, s6
	v_lshlrev_b32_e32 v2, 1, v0
	v_mov_b32_e32 v3, 0
	s_addc_u32 s17, s5, s7
	s_mov_b32 s15, 0
	v_lshl_add_u64 v[4:5], s[16:17], 0, v[2:3]
	s_lshl_b32 s14, s18, 1
	s_mov_b64 s[16:17], 0
	v_mov_b32_e32 v1, v0
.LBB11_3:                               ; =>This Inner Loop Header: Depth=1
	global_load_ushort v2, v[4:5], off
	v_add_u32_e32 v1, s18, v1
	v_cmp_le_i32_e32 vcc, s10, v1
	v_lshl_add_u64 v[4:5], v[4:5], 0, s[14:15]
	s_or_b64 s[16:17], vcc, s[16:17]
	s_waitcnt vmcnt(0)
	v_fma_mix_f32 v3, v2, v2, v3 op_sel_hi:[1,1,0]
	s_andn2_b64 exec, exec, s[16:17]
	s_cbranch_execnz .LBB11_3
; %bb.4:
	s_or_b64 exec, exec, s[16:17]
.LBB11_5:
	s_or_b64 exec, exec, s[12:13]
	s_sub_i32 s19, s3, s10
	s_ashr_i32 s12, s19, 31
	s_lshr_b32 s12, s12, 29
	s_add_i32 s12, s19, s12
	s_ashr_i32 s20, s12, 3
	s_ashr_i32 s11, s10, 31
	v_cmp_gt_i32_e32 vcc, s20, v0
	s_and_saveexec_b64 s[12:13], vcc
	s_cbranch_execz .LBB11_9
; %bb.6:
	s_lshl_b64 s[16:17], s[10:11], 1
	s_add_u32 s14, s4, s6
	s_addc_u32 s21, s5, s7
	s_add_u32 s16, s14, s16
	v_lshlrev_b32_e32 v4, 4, v0
	v_mov_b32_e32 v5, 0
	s_addc_u32 s17, s21, s17
	s_mov_b32 s15, 0
	v_lshl_add_u64 v[4:5], s[16:17], 0, v[4:5]
	s_lshl_b32 s14, s18, 4
	s_mov_b64 s[16:17], 0
	v_mov_b32_e32 v1, v0
.LBB11_7:                               ; =>This Inner Loop Header: Depth=1
	global_load_dwordx4 v[6:9], v[4:5], off
	v_add_u32_e32 v1, s18, v1
	v_cmp_le_i32_e32 vcc, s20, v1
	v_lshl_add_u64 v[4:5], v[4:5], 0, s[14:15]
	s_or_b64 s[16:17], vcc, s[16:17]
	s_waitcnt vmcnt(0)
	v_fma_mix_f32 v2, v6, v6, v3 op_sel_hi:[1,1,0]
	s_nop 0
	v_fma_mix_f32 v2, v6, v6, v2 op_sel:[1,1,0] op_sel_hi:[1,1,0]
	s_nop 0
	v_fma_mix_f32 v2, v7, v7, v2 op_sel_hi:[1,1,0]
	s_nop 0
	v_fma_mix_f32 v2, v7, v7, v2 op_sel:[1,1,0] op_sel_hi:[1,1,0]
	s_nop 0
	;; [unrolled: 4-line block ×3, first 2 shown]
	v_fma_mix_f32 v2, v9, v9, v2 op_sel_hi:[1,1,0]
	s_nop 0
	v_fma_mix_f32 v3, v9, v9, v2 op_sel:[1,1,0] op_sel_hi:[1,1,0]
	s_andn2_b64 exec, exec, s[16:17]
	s_cbranch_execnz .LBB11_7
; %bb.8:
	s_or_b64 exec, exec, s[16:17]
.LBB11_9:
	s_or_b64 exec, exec, s[12:13]
	v_lshl_add_u32 v4, s20, 3, v0
	v_cmp_gt_i32_e32 vcc, s19, v4
	s_and_saveexec_b64 s[12:13], vcc
	s_cbranch_execz .LBB11_13
; %bb.10:
	s_lshl_b64 s[10:11], s[10:11], 1
	s_add_u32 s14, s4, s6
	s_addc_u32 s15, s5, s7
	s_add_u32 s10, s14, s10
	v_ashrrev_i32_e32 v5, 31, v4
	s_addc_u32 s11, s15, s11
	v_lshl_add_u64 v[6:7], v[4:5], 1, s[10:11]
	s_lshl_b32 s10, s18, 1
	s_mov_b32 s11, 0
	s_mov_b64 s[14:15], 0
.LBB11_11:                              ; =>This Inner Loop Header: Depth=1
	global_load_ushort v1, v[6:7], off
	v_add_u32_e32 v4, s18, v4
	v_cmp_le_i32_e32 vcc, s19, v4
	v_lshl_add_u64 v[6:7], v[6:7], 0, s[10:11]
	s_or_b64 s[14:15], vcc, s[14:15]
	s_waitcnt vmcnt(0)
	v_fma_mix_f32 v3, v1, v1, v3 op_sel_hi:[1,1,0]
	s_andn2_b64 exec, exec, s[14:15]
	s_cbranch_execnz .LBB11_11
; %bb.12:
	s_or_b64 exec, exec, s[14:15]
.LBB11_13:
	s_or_b64 exec, exec, s[12:13]
	s_branch .LBB11_20
.LBB11_14:
                                        ; implicit-def: $vgpr3
	s_cbranch_execz .LBB11_20
; %bb.15:
	s_ashr_i32 s14, s3, 3
	v_cmp_gt_i32_e32 vcc, s14, v0
	v_mov_b32_e32 v3, 0
	s_and_saveexec_b64 s[10:11], vcc
	s_cbranch_execz .LBB11_19
; %bb.16:
	s_add_u32 s4, s4, s6
	v_lshlrev_b32_e32 v2, 4, v0
	v_mov_b32_e32 v3, 0
	s_addc_u32 s5, s5, s7
	s_mov_b32 s13, 0
	v_lshl_add_u64 v[4:5], s[4:5], 0, v[2:3]
	s_lshl_b32 s12, s18, 4
	s_mov_b64 s[4:5], 0
	v_mov_b32_e32 v1, v0
.LBB11_17:                              ; =>This Inner Loop Header: Depth=1
	global_load_dwordx4 v[6:9], v[4:5], off
	v_add_u32_e32 v1, s18, v1
	v_cmp_le_i32_e32 vcc, s14, v1
	v_lshl_add_u64 v[4:5], v[4:5], 0, s[12:13]
	s_or_b64 s[4:5], vcc, s[4:5]
	s_waitcnt vmcnt(0)
	v_fma_mix_f32 v2, v6, v6, v3 op_sel_hi:[1,1,0]
	s_nop 0
	v_fma_mix_f32 v2, v6, v6, v2 op_sel:[1,1,0] op_sel_hi:[1,1,0]
	s_nop 0
	v_fma_mix_f32 v2, v7, v7, v2 op_sel_hi:[1,1,0]
	s_nop 0
	v_fma_mix_f32 v2, v7, v7, v2 op_sel:[1,1,0] op_sel_hi:[1,1,0]
	s_nop 0
	;; [unrolled: 4-line block ×3, first 2 shown]
	v_fma_mix_f32 v2, v9, v9, v2 op_sel_hi:[1,1,0]
	s_nop 0
	v_fma_mix_f32 v3, v9, v9, v2 op_sel:[1,1,0] op_sel_hi:[1,1,0]
	s_andn2_b64 exec, exec, s[4:5]
	s_cbranch_execnz .LBB11_17
; %bb.18:
	s_or_b64 exec, exec, s[4:5]
.LBB11_19:
	s_or_b64 exec, exec, s[10:11]
.LBB11_20:
	v_mbcnt_lo_u32_b32 v1, -1, 0
	v_mbcnt_hi_u32_b32 v1, -1, v1
	v_and_b32_e32 v2, 63, v1
	v_cmp_ne_u32_e32 vcc, 63, v2
	v_and_b32_e32 v5, 0x3c0, v0
	v_sub_u32_e64 v5, s18, v5 clamp
	v_addc_co_u32_e32 v4, vcc, 0, v1, vcc
	v_lshlrev_b32_e32 v4, 2, v4
	ds_bpermute_b32 v4, v4, v3
	v_add_u32_e32 v6, 1, v1
	v_cmp_lt_u32_e32 vcc, v6, v5
	v_add_u32_e32 v6, 2, v1
	s_waitcnt lgkmcnt(0)
	v_add_f32_e32 v4, v3, v4
	v_cndmask_b32_e32 v3, v3, v4, vcc
	v_cmp_gt_u32_e32 vcc, 62, v2
	s_nop 1
	v_cndmask_b32_e64 v4, 0, 1, vcc
	v_lshlrev_b32_e32 v4, 1, v4
	v_add_lshl_u32 v4, v4, v1, 2
	ds_bpermute_b32 v4, v4, v3
	v_cmp_lt_u32_e32 vcc, v6, v5
	v_add_u32_e32 v6, 4, v1
	s_waitcnt lgkmcnt(0)
	v_add_f32_e32 v4, v3, v4
	v_cndmask_b32_e32 v3, v3, v4, vcc
	v_cmp_gt_u32_e32 vcc, 60, v2
	s_nop 1
	v_cndmask_b32_e64 v4, 0, 1, vcc
	v_lshlrev_b32_e32 v4, 2, v4
	v_add_lshl_u32 v4, v4, v1, 2
	ds_bpermute_b32 v4, v4, v3
	;; [unrolled: 11-line block ×4, first 2 shown]
	v_cmp_lt_u32_e32 vcc, v6, v5
	s_waitcnt lgkmcnt(0)
	v_add_f32_e32 v4, v3, v4
	v_cndmask_b32_e32 v3, v3, v4, vcc
	v_cmp_gt_u32_e32 vcc, 32, v2
	v_add_u32_e32 v4, 32, v1
	s_nop 0
	v_cndmask_b32_e64 v2, 0, 1, vcc
	v_lshlrev_b32_e32 v2, 5, v2
	v_add_lshl_u32 v2, v2, v1, 2
	ds_bpermute_b32 v2, v2, v3
	v_cmp_lt_u32_e32 vcc, v4, v5
	s_waitcnt lgkmcnt(0)
	v_add_f32_e32 v2, v3, v2
	v_cndmask_b32_e32 v2, v3, v2, vcc
	v_cmp_eq_u32_e32 vcc, 0, v1
	s_and_saveexec_b64 s[4:5], vcc
	s_cbranch_execz .LBB11_22
; %bb.21:
	v_lshrrev_b32_e32 v3, 4, v0
	v_and_b32_e32 v3, 60, v3
	ds_write_b32 v3, v2
.LBB11_22:
	s_or_b64 exec, exec, s[4:5]
	v_cmp_gt_u32_e32 vcc, 16, v0
	s_waitcnt lgkmcnt(0)
	s_barrier
	s_and_saveexec_b64 s[6:7], vcc
	s_cbranch_execz .LBB11_24
; %bb.23:
	v_lshlrev_b32_e32 v2, 2, v1
	ds_read_b32 v2, v2
	v_and_b32_e32 v3, 15, v1
	v_cmp_ne_u32_e32 vcc, 15, v3
	s_add_i32 s4, s18, 63
	s_lshr_b32 s10, s4, 6
	v_addc_co_u32_e32 v4, vcc, 0, v1, vcc
	v_lshlrev_b32_e32 v4, 2, v4
	s_waitcnt lgkmcnt(0)
	ds_bpermute_b32 v4, v4, v2
	v_add_u32_e32 v5, 1, v3
	v_cmp_gt_u32_e64 s[4:5], 14, v3
	v_cmp_gt_u32_e32 vcc, s10, v5
	v_add_u32_e32 v6, 2, v3
	v_cndmask_b32_e64 v5, 0, 1, s[4:5]
	s_waitcnt lgkmcnt(0)
	v_add_f32_e32 v4, v2, v4
	v_lshlrev_b32_e32 v5, 1, v5
	v_cndmask_b32_e32 v4, v2, v4, vcc
	v_add_lshl_u32 v5, v5, v1, 2
	ds_bpermute_b32 v5, v5, v4
	v_cmp_gt_u32_e64 s[4:5], s10, v6
	v_add_u32_e32 v6, 4, v3
	s_waitcnt lgkmcnt(0)
	v_add_f32_e32 v5, v4, v5
	v_cndmask_b32_e64 v4, v4, v5, s[4:5]
	v_cmp_gt_u32_e64 s[4:5], 12, v3
	s_nop 1
	v_cndmask_b32_e64 v5, 0, 1, s[4:5]
	v_lshlrev_b32_e32 v5, 2, v5
	v_add_lshl_u32 v5, v5, v1, 2
	ds_bpermute_b32 v5, v5, v4
	v_cmp_gt_u32_e64 s[4:5], s10, v6
	s_waitcnt lgkmcnt(0)
	v_add_f32_e32 v5, v4, v5
	v_cndmask_b32_e64 v4, v4, v5, s[4:5]
	v_cmp_gt_u32_e64 s[4:5], 8, v3
	v_add_u32_e32 v3, 8, v3
	s_nop 0
	v_cndmask_b32_e64 v5, 0, 1, s[4:5]
	v_lshlrev_b32_e32 v5, 3, v5
	v_add_lshl_u32 v1, v5, v1, 2
	ds_bpermute_b32 v1, v1, v4
	v_cmp_gt_u32_e64 s[4:5], s10, v3
	s_waitcnt lgkmcnt(0)
	v_add_f32_e32 v1, v4, v1
	v_cndmask_b32_e64 v1, v4, v1, s[4:5]
	v_cndmask_b32_e32 v2, v2, v1, vcc
.LBB11_24:
	s_or_b64 exec, exec, s[6:7]
	v_cmp_eq_u32_e32 vcc, 0, v0
	s_and_saveexec_b64 s[4:5], vcc
	s_cbranch_execz .LBB11_26
; %bb.25:
	v_cvt_f32_i32_e32 v1, s3
	s_load_dword s10, s[0:1], 0x28
	v_div_scale_f32 v3, s[6:7], v1, v1, v2
	v_rcp_f32_e32 v4, v3
	v_div_scale_f32 v5, vcc, v2, v1, v2
	s_mov_b32 s6, 0x800000
	v_fma_f32 v6, -v3, v4, 1.0
	v_fmac_f32_e32 v4, v6, v4
	v_mul_f32_e32 v6, v5, v4
	v_fma_f32 v7, -v3, v6, v5
	v_fmac_f32_e32 v6, v7, v4
	v_fma_f32 v3, -v3, v6, v5
	v_div_fmas_f32 v3, v3, v4, v6
	v_div_fixup_f32 v1, v3, v1, v2
	s_waitcnt lgkmcnt(0)
	v_add_f32_e32 v1, s10, v1
	v_mul_f32_e32 v2, 0x4b800000, v1
	v_cmp_gt_f32_e32 vcc, s6, v1
	s_nop 1
	v_cndmask_b32_e32 v1, v1, v2, vcc
	v_rsq_f32_e32 v1, v1
	s_nop 0
	v_mul_f32_e32 v2, 0x45800000, v1
	v_cndmask_b32_e32 v1, v1, v2, vcc
	v_mov_b32_e32 v2, 0
	ds_write_b32 v2, v1 offset:64
.LBB11_26:
	s_or_b64 exec, exec, s[4:5]
	s_ashr_i32 s4, s3, 31
	s_lshr_b32 s4, s4, 29
	s_add_i32 s4, s3, s4
	s_ashr_i32 s12, s4, 3
	v_cmp_gt_i32_e32 vcc, s12, v0
	s_waitcnt lgkmcnt(0)
	s_barrier
	s_and_saveexec_b64 s[4:5], vcc
	s_cbranch_execz .LBB11_77
; %bb.27:
	s_load_dwordx4 s[4:7], s[0:1], 0x18
	s_load_dwordx2 s[10:11], s[0:1], 0x0
	s_mul_i32 s2, s2, s3
	v_mov_b32_e32 v11, 0
	ds_read_b32 v1, v11 offset:64
	s_waitcnt lgkmcnt(0)
	s_load_dword s3, s[6:7], 0x0
	s_lshl_b32 s13, s18, 3
	v_lshlrev_b32_e32 v10, 4, v0
	v_lshl_add_u32 v12, v0, 3, s2
	s_lshl_b32 s14, s18, 4
	s_waitcnt lgkmcnt(0)
	v_div_scale_f32 v2, s[0:1], s3, s3, 1.0
	v_rcp_f32_e32 v3, v2
	v_div_scale_f32 v4, vcc, 1.0, s3, 1.0
	s_mov_b64 s[0:1], 0
	v_fma_f32 v5, -v2, v3, 1.0
	v_fmac_f32_e32 v3, v5, v3
	v_mul_f32_e32 v5, v4, v3
	v_fma_f32 v6, -v2, v5, v4
	v_fmac_f32_e32 v5, v6, v3
	v_fma_f32 v2, -v2, v5, v4
	v_div_fmas_f32 v2, v2, v3, v5
	v_div_fixup_f32 v13, v2, s3, 1.0
	s_mov_b32 s15, 0x43f00000
	s_mov_b32 s16, 0x3c7fffff
	;; [unrolled: 1-line block ×4, first 2 shown]
	s_movk_i32 s20, 0x80
	s_branch .LBB11_30
.LBB11_28:                              ;   in Loop: Header=BB11_30 Depth=1
	s_or_b64 exec, exec, s[6:7]
.LBB11_29:                              ;   in Loop: Header=BB11_30 Depth=1
	s_or_b64 exec, exec, s[2:3]
	s_add_u32 s4, s4, s14
	s_addc_u32 s5, s5, 0
	v_add_u32_e32 v0, s18, v0
	s_add_u32 s8, s8, s14
	v_lshrrev_b32_e32 v3, 24, v3
	s_addc_u32 s9, s9, 0
	v_cmp_le_i32_e32 vcc, s12, v0
	v_and_or_b32 v2, v3, s20, v2
	v_add_u32_e32 v3, 7, v12
	s_or_b64 s[0:1], vcc, s[0:1]
	v_add_u32_e32 v12, s13, v12
	global_store_byte v3, v2, s[10:11]
	s_andn2_b64 exec, exec, s[0:1]
	s_cbranch_execz .LBB11_77
.LBB11_30:                              ; =>This Inner Loop Header: Depth=1
	v_lshl_add_u64 v[2:3], s[8:9], 0, v[10:11]
	global_load_dwordx4 v[2:5], v[2:3], off
	v_lshl_add_u64 v[6:7], s[4:5], 0, v[10:11]
	global_load_dwordx4 v[6:9], v[6:7], off
	v_mov_b32_e32 v16, 0x7f
	s_waitcnt vmcnt(1)
	v_fma_mixlo_f16 v14, v1, v2, 0 op_sel_hi:[0,1,0]
	s_waitcnt vmcnt(0)
	v_mul_f16_e32 v14, v6, v14
	v_cvt_f32_f16_e32 v15, v14
	v_mov_b32_e32 v14, 0x7f
	v_mul_f32_e32 v15, v13, v15
	v_min_f32_e32 v15, 0x43e00000, v15
	v_max_f32_e32 v15, 0xc3e00000, v15
	v_and_b32_e32 v17, 0x7fffffff, v15
	v_cmp_gt_u32_e32 vcc, s15, v17
	s_and_saveexec_b64 s[2:3], vcc
	s_cbranch_execz .LBB11_36
; %bb.31:                               ;   in Loop: Header=BB11_30 Depth=1
	v_cmp_lt_u32_e32 vcc, s16, v17
                                        ; implicit-def: $vgpr16
	s_and_saveexec_b64 s[6:7], vcc
	s_xor_b64 s[6:7], exec, s[6:7]
; %bb.32:                               ;   in Loop: Header=BB11_30 Depth=1
	v_bfe_u32 v16, v15, 20, 1
	v_add3_u32 v16, v15, v16, s17
	v_lshrrev_b32_e32 v16, 20, v16
; %bb.33:                               ;   in Loop: Header=BB11_30 Depth=1
	s_andn2_saveexec_b64 s[6:7], s[6:7]
; %bb.34:                               ;   in Loop: Header=BB11_30 Depth=1
	v_add_f32_e64 v16, |v15|, s19
; %bb.35:                               ;   in Loop: Header=BB11_30 Depth=1
	s_or_b64 exec, exec, s[6:7]
.LBB11_36:                              ;   in Loop: Header=BB11_30 Depth=1
	s_or_b64 exec, exec, s[2:3]
	v_fma_mixlo_f16 v2, v1, v2, 0 op_sel:[0,1,0] op_sel_hi:[0,1,0]
	v_mul_f16_sdwa v2, v6, v2 dst_sel:DWORD dst_unused:UNUSED_PAD src0_sel:WORD_1 src1_sel:DWORD
	v_cvt_f32_f16_e32 v2, v2
	v_lshrrev_b32_e32 v6, 24, v15
	v_and_or_b32 v6, v6, s20, v16
	global_store_byte v12, v6, s[10:11]
	v_mul_f32_e32 v2, v13, v2
	v_min_f32_e32 v2, 0x43e00000, v2
	v_max_f32_e32 v2, 0xc3e00000, v2
	v_and_b32_e32 v6, 0x7fffffff, v2
	v_cmp_gt_u32_e32 vcc, s15, v6
	s_and_saveexec_b64 s[2:3], vcc
	s_cbranch_execz .LBB11_42
; %bb.37:                               ;   in Loop: Header=BB11_30 Depth=1
	v_cmp_lt_u32_e32 vcc, s16, v6
                                        ; implicit-def: $vgpr14
	s_and_saveexec_b64 s[6:7], vcc
	s_xor_b64 s[6:7], exec, s[6:7]
; %bb.38:                               ;   in Loop: Header=BB11_30 Depth=1
	v_bfe_u32 v6, v2, 20, 1
	v_add3_u32 v6, v2, v6, s17
	v_lshrrev_b32_e32 v14, 20, v6
; %bb.39:                               ;   in Loop: Header=BB11_30 Depth=1
	s_andn2_saveexec_b64 s[6:7], s[6:7]
; %bb.40:                               ;   in Loop: Header=BB11_30 Depth=1
	v_add_f32_e64 v14, |v2|, s19
; %bb.41:                               ;   in Loop: Header=BB11_30 Depth=1
	s_or_b64 exec, exec, s[6:7]
.LBB11_42:                              ;   in Loop: Header=BB11_30 Depth=1
	s_or_b64 exec, exec, s[2:3]
	v_fma_mixlo_f16 v6, v1, v3, 0 op_sel_hi:[0,1,0]
	v_mul_f16_e32 v6, v7, v6
	v_cvt_f32_f16_e32 v6, v6
	v_lshrrev_b32_e32 v2, 24, v2
	v_and_or_b32 v2, v2, s20, v14
	v_add_u32_e32 v14, 1, v12
	global_store_byte v14, v2, s[10:11]
	v_mul_f32_e32 v2, v13, v6
	v_min_f32_e32 v2, 0x43e00000, v2
	v_max_f32_e32 v6, 0xc3e00000, v2
	v_and_b32_e32 v15, 0x7fffffff, v6
	v_cmp_gt_u32_e32 vcc, s15, v15
	v_mov_b32_e32 v2, 0x7f
	v_mov_b32_e32 v14, 0x7f
	s_and_saveexec_b64 s[2:3], vcc
	s_cbranch_execz .LBB11_48
; %bb.43:                               ;   in Loop: Header=BB11_30 Depth=1
	v_cmp_lt_u32_e32 vcc, s16, v15
                                        ; implicit-def: $vgpr14
	s_and_saveexec_b64 s[6:7], vcc
	s_xor_b64 s[6:7], exec, s[6:7]
; %bb.44:                               ;   in Loop: Header=BB11_30 Depth=1
	v_bfe_u32 v14, v6, 20, 1
	v_add3_u32 v14, v6, v14, s17
	v_lshrrev_b32_e32 v14, 20, v14
; %bb.45:                               ;   in Loop: Header=BB11_30 Depth=1
	s_andn2_saveexec_b64 s[6:7], s[6:7]
; %bb.46:                               ;   in Loop: Header=BB11_30 Depth=1
	v_add_f32_e64 v14, |v6|, s19
; %bb.47:                               ;   in Loop: Header=BB11_30 Depth=1
	s_or_b64 exec, exec, s[6:7]
.LBB11_48:                              ;   in Loop: Header=BB11_30 Depth=1
	s_or_b64 exec, exec, s[2:3]
	v_fma_mixlo_f16 v3, v1, v3, 0 op_sel:[0,1,0] op_sel_hi:[0,1,0]
	v_mul_f16_sdwa v3, v7, v3 dst_sel:DWORD dst_unused:UNUSED_PAD src0_sel:WORD_1 src1_sel:DWORD
	v_cvt_f32_f16_e32 v3, v3
	v_lshrrev_b32_e32 v6, 24, v6
	v_and_or_b32 v6, v6, s20, v14
	v_add_u32_e32 v7, 2, v12
	v_mul_f32_e32 v3, v13, v3
	v_min_f32_e32 v3, 0x43e00000, v3
	v_max_f32_e32 v3, 0xc3e00000, v3
	global_store_byte v7, v6, s[10:11]
	v_and_b32_e32 v6, 0x7fffffff, v3
	v_cmp_gt_u32_e32 vcc, s15, v6
	s_and_saveexec_b64 s[2:3], vcc
	s_cbranch_execz .LBB11_54
; %bb.49:                               ;   in Loop: Header=BB11_30 Depth=1
	v_cmp_lt_u32_e32 vcc, s16, v6
                                        ; implicit-def: $vgpr2
	s_and_saveexec_b64 s[6:7], vcc
	s_xor_b64 s[6:7], exec, s[6:7]
; %bb.50:                               ;   in Loop: Header=BB11_30 Depth=1
	v_bfe_u32 v2, v3, 20, 1
	v_add3_u32 v2, v3, v2, s17
	v_lshrrev_b32_e32 v2, 20, v2
; %bb.51:                               ;   in Loop: Header=BB11_30 Depth=1
	s_andn2_saveexec_b64 s[6:7], s[6:7]
; %bb.52:                               ;   in Loop: Header=BB11_30 Depth=1
	v_add_f32_e64 v2, |v3|, s19
; %bb.53:                               ;   in Loop: Header=BB11_30 Depth=1
	s_or_b64 exec, exec, s[6:7]
.LBB11_54:                              ;   in Loop: Header=BB11_30 Depth=1
	s_or_b64 exec, exec, s[2:3]
	v_fma_mixlo_f16 v6, v1, v4, 0 op_sel_hi:[0,1,0]
	v_mul_f16_e32 v6, v8, v6
	v_cvt_f32_f16_e32 v6, v6
	v_lshrrev_b32_e32 v3, 24, v3
	v_and_or_b32 v2, v3, s20, v2
	v_add_u32_e32 v3, 3, v12
	global_store_byte v3, v2, s[10:11]
	v_mul_f32_e32 v2, v13, v6
	v_min_f32_e32 v2, 0x43e00000, v2
	v_max_f32_e32 v3, 0xc3e00000, v2
	v_and_b32_e32 v7, 0x7fffffff, v3
	v_cmp_gt_u32_e32 vcc, s15, v7
	v_mov_b32_e32 v2, 0x7f
	v_mov_b32_e32 v6, 0x7f
	s_and_saveexec_b64 s[2:3], vcc
	s_cbranch_execz .LBB11_60
; %bb.55:                               ;   in Loop: Header=BB11_30 Depth=1
	v_cmp_lt_u32_e32 vcc, s16, v7
                                        ; implicit-def: $vgpr6
	s_and_saveexec_b64 s[6:7], vcc
	s_xor_b64 s[6:7], exec, s[6:7]
; %bb.56:                               ;   in Loop: Header=BB11_30 Depth=1
	v_bfe_u32 v6, v3, 20, 1
	v_add3_u32 v6, v3, v6, s17
	v_lshrrev_b32_e32 v6, 20, v6
; %bb.57:                               ;   in Loop: Header=BB11_30 Depth=1
	s_andn2_saveexec_b64 s[6:7], s[6:7]
; %bb.58:                               ;   in Loop: Header=BB11_30 Depth=1
	v_add_f32_e64 v6, |v3|, s19
; %bb.59:                               ;   in Loop: Header=BB11_30 Depth=1
	s_or_b64 exec, exec, s[6:7]
.LBB11_60:                              ;   in Loop: Header=BB11_30 Depth=1
	s_or_b64 exec, exec, s[2:3]
	v_fma_mixlo_f16 v4, v1, v4, 0 op_sel:[0,1,0] op_sel_hi:[0,1,0]
	v_mul_f16_sdwa v4, v8, v4 dst_sel:DWORD dst_unused:UNUSED_PAD src0_sel:WORD_1 src1_sel:DWORD
	v_cvt_f32_f16_e32 v4, v4
	v_lshrrev_b32_e32 v3, 24, v3
	v_and_or_b32 v3, v3, s20, v6
	v_add_u32_e32 v6, 4, v12
	global_store_byte v6, v3, s[10:11]
	v_mul_f32_e32 v3, v13, v4
	v_min_f32_e32 v3, 0x43e00000, v3
	v_max_f32_e32 v3, 0xc3e00000, v3
	v_and_b32_e32 v4, 0x7fffffff, v3
	v_cmp_gt_u32_e32 vcc, s15, v4
	s_and_saveexec_b64 s[2:3], vcc
	s_cbranch_execz .LBB11_66
; %bb.61:                               ;   in Loop: Header=BB11_30 Depth=1
	v_cmp_lt_u32_e32 vcc, s16, v4
                                        ; implicit-def: $vgpr2
	s_and_saveexec_b64 s[6:7], vcc
	s_xor_b64 s[6:7], exec, s[6:7]
; %bb.62:                               ;   in Loop: Header=BB11_30 Depth=1
	v_bfe_u32 v2, v3, 20, 1
	v_add3_u32 v2, v3, v2, s17
	v_lshrrev_b32_e32 v2, 20, v2
; %bb.63:                               ;   in Loop: Header=BB11_30 Depth=1
	s_andn2_saveexec_b64 s[6:7], s[6:7]
; %bb.64:                               ;   in Loop: Header=BB11_30 Depth=1
	v_add_f32_e64 v2, |v3|, s19
; %bb.65:                               ;   in Loop: Header=BB11_30 Depth=1
	s_or_b64 exec, exec, s[6:7]
.LBB11_66:                              ;   in Loop: Header=BB11_30 Depth=1
	s_or_b64 exec, exec, s[2:3]
	v_fma_mixlo_f16 v4, v1, v5, 0 op_sel_hi:[0,1,0]
	v_mul_f16_e32 v4, v9, v4
	v_cvt_f32_f16_e32 v4, v4
	v_lshrrev_b32_e32 v3, 24, v3
	v_and_or_b32 v2, v3, s20, v2
	v_add_u32_e32 v3, 5, v12
	global_store_byte v3, v2, s[10:11]
	v_mul_f32_e32 v2, v13, v4
	v_min_f32_e32 v2, 0x43e00000, v2
	v_max_f32_e32 v3, 0xc3e00000, v2
	v_and_b32_e32 v6, 0x7fffffff, v3
	v_cmp_gt_u32_e32 vcc, s15, v6
	v_mov_b32_e32 v2, 0x7f
	v_mov_b32_e32 v4, 0x7f
	s_and_saveexec_b64 s[2:3], vcc
	s_cbranch_execz .LBB11_72
; %bb.67:                               ;   in Loop: Header=BB11_30 Depth=1
	v_cmp_lt_u32_e32 vcc, s16, v6
                                        ; implicit-def: $vgpr4
	s_and_saveexec_b64 s[6:7], vcc
	s_xor_b64 s[6:7], exec, s[6:7]
; %bb.68:                               ;   in Loop: Header=BB11_30 Depth=1
	v_bfe_u32 v4, v3, 20, 1
	v_add3_u32 v4, v3, v4, s17
	v_lshrrev_b32_e32 v4, 20, v4
; %bb.69:                               ;   in Loop: Header=BB11_30 Depth=1
	s_andn2_saveexec_b64 s[6:7], s[6:7]
; %bb.70:                               ;   in Loop: Header=BB11_30 Depth=1
	v_add_f32_e64 v4, |v3|, s19
; %bb.71:                               ;   in Loop: Header=BB11_30 Depth=1
	s_or_b64 exec, exec, s[6:7]
.LBB11_72:                              ;   in Loop: Header=BB11_30 Depth=1
	s_or_b64 exec, exec, s[2:3]
	v_fma_mixlo_f16 v5, v1, v5, 0 op_sel:[0,1,0] op_sel_hi:[0,1,0]
	v_mul_f16_sdwa v5, v9, v5 dst_sel:DWORD dst_unused:UNUSED_PAD src0_sel:WORD_1 src1_sel:DWORD
	v_cvt_f32_f16_e32 v5, v5
	v_lshrrev_b32_e32 v3, 24, v3
	v_and_or_b32 v3, v3, s20, v4
	v_add_u32_e32 v4, 6, v12
	global_store_byte v4, v3, s[10:11]
	v_mul_f32_e32 v3, v13, v5
	v_min_f32_e32 v3, 0x43e00000, v3
	v_max_f32_e32 v3, 0xc3e00000, v3
	v_and_b32_e32 v4, 0x7fffffff, v3
	v_cmp_gt_u32_e32 vcc, s15, v4
	s_and_saveexec_b64 s[2:3], vcc
	s_cbranch_execz .LBB11_29
; %bb.73:                               ;   in Loop: Header=BB11_30 Depth=1
	v_cmp_lt_u32_e32 vcc, s16, v4
                                        ; implicit-def: $vgpr2
	s_and_saveexec_b64 s[6:7], vcc
	s_xor_b64 s[6:7], exec, s[6:7]
; %bb.74:                               ;   in Loop: Header=BB11_30 Depth=1
	v_bfe_u32 v2, v3, 20, 1
	v_add3_u32 v2, v3, v2, s17
	v_lshrrev_b32_e32 v2, 20, v2
; %bb.75:                               ;   in Loop: Header=BB11_30 Depth=1
	s_andn2_saveexec_b64 s[6:7], s[6:7]
	s_cbranch_execz .LBB11_28
; %bb.76:                               ;   in Loop: Header=BB11_30 Depth=1
	v_add_f32_e64 v2, |v3|, s19
	s_branch .LBB11_28
.LBB11_77:
	s_endpgm
	.section	.rodata,"a",@progbits
	.p2align	6, 0x0
	.amdhsa_kernel _ZN4vllm32rms_norm_static_fp8_quant_kernelIN3c104HalfENS1_13Float8_e4m3fnELi8EEEvPT0_PKT_iS8_PKffii
		.amdhsa_group_segment_fixed_size 68
		.amdhsa_private_segment_fixed_size 0
		.amdhsa_kernarg_size 312
		.amdhsa_user_sgpr_count 2
		.amdhsa_user_sgpr_dispatch_ptr 0
		.amdhsa_user_sgpr_queue_ptr 0
		.amdhsa_user_sgpr_kernarg_segment_ptr 1
		.amdhsa_user_sgpr_dispatch_id 0
		.amdhsa_user_sgpr_kernarg_preload_length 0
		.amdhsa_user_sgpr_kernarg_preload_offset 0
		.amdhsa_user_sgpr_private_segment_size 0
		.amdhsa_uses_dynamic_stack 0
		.amdhsa_enable_private_segment 0
		.amdhsa_system_sgpr_workgroup_id_x 1
		.amdhsa_system_sgpr_workgroup_id_y 0
		.amdhsa_system_sgpr_workgroup_id_z 0
		.amdhsa_system_sgpr_workgroup_info 0
		.amdhsa_system_vgpr_workitem_id 0
		.amdhsa_next_free_vgpr 18
		.amdhsa_next_free_sgpr 22
		.amdhsa_accum_offset 20
		.amdhsa_reserve_vcc 1
		.amdhsa_float_round_mode_32 0
		.amdhsa_float_round_mode_16_64 0
		.amdhsa_float_denorm_mode_32 3
		.amdhsa_float_denorm_mode_16_64 3
		.amdhsa_dx10_clamp 1
		.amdhsa_ieee_mode 1
		.amdhsa_fp16_overflow 0
		.amdhsa_tg_split 0
		.amdhsa_exception_fp_ieee_invalid_op 0
		.amdhsa_exception_fp_denorm_src 0
		.amdhsa_exception_fp_ieee_div_zero 0
		.amdhsa_exception_fp_ieee_overflow 0
		.amdhsa_exception_fp_ieee_underflow 0
		.amdhsa_exception_fp_ieee_inexact 0
		.amdhsa_exception_int_div_zero 0
	.end_amdhsa_kernel
	.section	.text._ZN4vllm32rms_norm_static_fp8_quant_kernelIN3c104HalfENS1_13Float8_e4m3fnELi8EEEvPT0_PKT_iS8_PKffii,"axG",@progbits,_ZN4vllm32rms_norm_static_fp8_quant_kernelIN3c104HalfENS1_13Float8_e4m3fnELi8EEEvPT0_PKT_iS8_PKffii,comdat
.Lfunc_end11:
	.size	_ZN4vllm32rms_norm_static_fp8_quant_kernelIN3c104HalfENS1_13Float8_e4m3fnELi8EEEvPT0_PKT_iS8_PKffii, .Lfunc_end11-_ZN4vllm32rms_norm_static_fp8_quant_kernelIN3c104HalfENS1_13Float8_e4m3fnELi8EEEvPT0_PKT_iS8_PKffii
                                        ; -- End function
	.section	.AMDGPU.csdata,"",@progbits
; Kernel info:
; codeLenInByte = 3080
; NumSgprs: 28
; NumVgprs: 18
; NumAgprs: 0
; TotalNumVgprs: 18
; ScratchSize: 0
; MemoryBound: 0
; FloatMode: 240
; IeeeMode: 1
; LDSByteSize: 68 bytes/workgroup (compile time only)
; SGPRBlocks: 3
; VGPRBlocks: 2
; NumSGPRsForWavesPerEU: 28
; NumVGPRsForWavesPerEU: 18
; AccumOffset: 20
; Occupancy: 8
; WaveLimiterHint : 0
; COMPUTE_PGM_RSRC2:SCRATCH_EN: 0
; COMPUTE_PGM_RSRC2:USER_SGPR: 2
; COMPUTE_PGM_RSRC2:TRAP_HANDLER: 0
; COMPUTE_PGM_RSRC2:TGID_X_EN: 1
; COMPUTE_PGM_RSRC2:TGID_Y_EN: 0
; COMPUTE_PGM_RSRC2:TGID_Z_EN: 0
; COMPUTE_PGM_RSRC2:TIDIG_COMP_CNT: 0
; COMPUTE_PGM_RSRC3_GFX90A:ACCUM_OFFSET: 4
; COMPUTE_PGM_RSRC3_GFX90A:TG_SPLIT: 0
	.section	.text._ZN4vllm32rms_norm_static_fp8_quant_kernelIN3c104HalfENS1_13Float8_e4m3fnELi4EEEvPT0_PKT_iS8_PKffii,"axG",@progbits,_ZN4vllm32rms_norm_static_fp8_quant_kernelIN3c104HalfENS1_13Float8_e4m3fnELi4EEEvPT0_PKT_iS8_PKffii,comdat
	.protected	_ZN4vllm32rms_norm_static_fp8_quant_kernelIN3c104HalfENS1_13Float8_e4m3fnELi4EEEvPT0_PKT_iS8_PKffii ; -- Begin function _ZN4vllm32rms_norm_static_fp8_quant_kernelIN3c104HalfENS1_13Float8_e4m3fnELi4EEEvPT0_PKT_iS8_PKffii
	.globl	_ZN4vllm32rms_norm_static_fp8_quant_kernelIN3c104HalfENS1_13Float8_e4m3fnELi4EEEvPT0_PKT_iS8_PKffii
	.p2align	8
	.type	_ZN4vllm32rms_norm_static_fp8_quant_kernelIN3c104HalfENS1_13Float8_e4m3fnELi4EEEvPT0_PKT_iS8_PKffii,@function
_ZN4vllm32rms_norm_static_fp8_quant_kernelIN3c104HalfENS1_13Float8_e4m3fnELi4EEEvPT0_PKT_iS8_PKffii: ; @_ZN4vllm32rms_norm_static_fp8_quant_kernelIN3c104HalfENS1_13Float8_e4m3fnELi4EEEvPT0_PKT_iS8_PKffii
; %bb.0:
	s_load_dword s6, s[0:1], 0x10
	s_load_dwordx2 s[4:5], s[0:1], 0x8
	s_load_dword s3, s[0:1], 0x30
	s_load_dword s12, s[0:1], 0x44
	s_mov_b32 s11, 0
	s_waitcnt lgkmcnt(0)
	s_mul_i32 s10, s2, s6
	s_lshl_b64 s[6:7], s[10:11], 1
	s_add_u32 s8, s4, s6
	s_addc_u32 s9, s5, s7
	s_and_b32 s18, s12, 0xffff
	s_and_b32 s10, s8, 7
	s_cmp_lg_u64 s[10:11], 0
	s_cselect_b64 s[10:11], -1, 0
	s_and_b32 s12, s3, 3
	s_cmp_lg_u32 s12, 0
	s_cselect_b64 s[12:13], -1, 0
	s_or_b64 s[10:11], s[10:11], s[12:13]
	s_and_b64 vcc, exec, s[10:11]
	s_cbranch_vccz .LBB12_14
; %bb.1:
	s_sub_i32 s10, 0, s8
	s_bfe_u32 s10, s10, 0x20001
	s_min_i32 s10, s10, s3
	v_cmp_gt_i32_e32 vcc, s10, v0
	v_mov_b32_e32 v3, 0
	s_and_saveexec_b64 s[12:13], vcc
	s_cbranch_execz .LBB12_5
; %bb.2:
	s_add_u32 s16, s4, s6
	v_lshlrev_b32_e32 v2, 1, v0
	v_mov_b32_e32 v3, 0
	s_addc_u32 s17, s5, s7
	s_mov_b32 s15, 0
	v_lshl_add_u64 v[4:5], s[16:17], 0, v[2:3]
	s_lshl_b32 s14, s18, 1
	s_mov_b64 s[16:17], 0
	v_mov_b32_e32 v1, v0
.LBB12_3:                               ; =>This Inner Loop Header: Depth=1
	global_load_ushort v2, v[4:5], off
	v_add_u32_e32 v1, s18, v1
	v_cmp_le_i32_e32 vcc, s10, v1
	v_lshl_add_u64 v[4:5], v[4:5], 0, s[14:15]
	s_or_b64 s[16:17], vcc, s[16:17]
	s_waitcnt vmcnt(0)
	v_fma_mix_f32 v3, v2, v2, v3 op_sel_hi:[1,1,0]
	s_andn2_b64 exec, exec, s[16:17]
	s_cbranch_execnz .LBB12_3
; %bb.4:
	s_or_b64 exec, exec, s[16:17]
.LBB12_5:
	s_or_b64 exec, exec, s[12:13]
	s_sub_i32 s19, s3, s10
	s_ashr_i32 s12, s19, 31
	s_lshr_b32 s12, s12, 30
	s_add_i32 s12, s19, s12
	s_ashr_i32 s20, s12, 2
	s_ashr_i32 s11, s10, 31
	v_cmp_gt_i32_e32 vcc, s20, v0
	s_and_saveexec_b64 s[12:13], vcc
	s_cbranch_execz .LBB12_9
; %bb.6:
	s_lshl_b64 s[16:17], s[10:11], 1
	s_add_u32 s14, s4, s6
	s_addc_u32 s21, s5, s7
	s_add_u32 s16, s14, s16
	v_lshlrev_b32_e32 v4, 3, v0
	v_mov_b32_e32 v5, 0
	s_addc_u32 s17, s21, s17
	v_lshl_add_u64 v[4:5], s[16:17], 0, v[4:5]
	s_mov_b32 s15, 0
	v_lshl_add_u64 v[4:5], v[4:5], 0, 4
	s_lshl_b32 s14, s18, 3
	s_mov_b64 s[16:17], 0
	v_mov_b32_e32 v1, v0
.LBB12_7:                               ; =>This Inner Loop Header: Depth=1
	global_load_dwordx2 v[6:7], v[4:5], off offset:-4
	v_add_u32_e32 v1, s18, v1
	v_cmp_le_i32_e32 vcc, s20, v1
	v_lshl_add_u64 v[4:5], v[4:5], 0, s[14:15]
	s_or_b64 s[16:17], vcc, s[16:17]
	s_waitcnt vmcnt(0)
	v_fma_mix_f32 v2, v6, v6, v3 op_sel_hi:[1,1,0]
	s_nop 0
	v_fma_mix_f32 v2, v6, v6, v2 op_sel:[1,1,0] op_sel_hi:[1,1,0]
	s_nop 0
	v_fma_mix_f32 v2, v7, v7, v2 op_sel_hi:[1,1,0]
	s_nop 0
	v_fma_mix_f32 v3, v7, v7, v2 op_sel:[1,1,0] op_sel_hi:[1,1,0]
	s_andn2_b64 exec, exec, s[16:17]
	s_cbranch_execnz .LBB12_7
; %bb.8:
	s_or_b64 exec, exec, s[16:17]
.LBB12_9:
	s_or_b64 exec, exec, s[12:13]
	v_lshl_add_u32 v4, s20, 2, v0
	v_cmp_gt_i32_e32 vcc, s19, v4
	s_and_saveexec_b64 s[12:13], vcc
	s_cbranch_execz .LBB12_13
; %bb.10:
	s_lshl_b64 s[10:11], s[10:11], 1
	s_add_u32 s14, s4, s6
	s_addc_u32 s15, s5, s7
	s_add_u32 s10, s14, s10
	v_ashrrev_i32_e32 v5, 31, v4
	s_addc_u32 s11, s15, s11
	v_lshl_add_u64 v[6:7], v[4:5], 1, s[10:11]
	s_lshl_b32 s10, s18, 1
	s_mov_b32 s11, 0
	s_mov_b64 s[14:15], 0
.LBB12_11:                              ; =>This Inner Loop Header: Depth=1
	global_load_ushort v1, v[6:7], off
	v_add_u32_e32 v4, s18, v4
	v_cmp_le_i32_e32 vcc, s19, v4
	v_lshl_add_u64 v[6:7], v[6:7], 0, s[10:11]
	s_or_b64 s[14:15], vcc, s[14:15]
	s_waitcnt vmcnt(0)
	v_fma_mix_f32 v3, v1, v1, v3 op_sel_hi:[1,1,0]
	s_andn2_b64 exec, exec, s[14:15]
	s_cbranch_execnz .LBB12_11
; %bb.12:
	s_or_b64 exec, exec, s[14:15]
.LBB12_13:
	s_or_b64 exec, exec, s[12:13]
	s_branch .LBB12_20
.LBB12_14:
                                        ; implicit-def: $vgpr3
	s_cbranch_execz .LBB12_20
; %bb.15:
	s_ashr_i32 s14, s3, 2
	v_cmp_gt_i32_e32 vcc, s14, v0
	v_mov_b32_e32 v3, 0
	s_and_saveexec_b64 s[10:11], vcc
	s_cbranch_execz .LBB12_19
; %bb.16:
	s_add_u32 s4, s4, s6
	v_lshlrev_b32_e32 v2, 3, v0
	v_mov_b32_e32 v3, 0
	s_addc_u32 s5, s5, s7
	v_lshl_add_u64 v[4:5], s[4:5], 0, v[2:3]
	s_mov_b32 s13, 0
	v_lshl_add_u64 v[4:5], v[4:5], 0, 4
	s_lshl_b32 s12, s18, 3
	s_mov_b64 s[4:5], 0
	v_mov_b32_e32 v1, v0
.LBB12_17:                              ; =>This Inner Loop Header: Depth=1
	global_load_dwordx2 v[6:7], v[4:5], off offset:-4
	v_add_u32_e32 v1, s18, v1
	v_cmp_le_i32_e32 vcc, s14, v1
	v_lshl_add_u64 v[4:5], v[4:5], 0, s[12:13]
	s_or_b64 s[4:5], vcc, s[4:5]
	s_waitcnt vmcnt(0)
	v_fma_mix_f32 v2, v6, v6, v3 op_sel_hi:[1,1,0]
	s_nop 0
	v_fma_mix_f32 v2, v6, v6, v2 op_sel:[1,1,0] op_sel_hi:[1,1,0]
	s_nop 0
	v_fma_mix_f32 v2, v7, v7, v2 op_sel_hi:[1,1,0]
	s_nop 0
	v_fma_mix_f32 v3, v7, v7, v2 op_sel:[1,1,0] op_sel_hi:[1,1,0]
	s_andn2_b64 exec, exec, s[4:5]
	s_cbranch_execnz .LBB12_17
; %bb.18:
	s_or_b64 exec, exec, s[4:5]
.LBB12_19:
	s_or_b64 exec, exec, s[10:11]
.LBB12_20:
	v_mbcnt_lo_u32_b32 v1, -1, 0
	v_mbcnt_hi_u32_b32 v1, -1, v1
	v_and_b32_e32 v2, 63, v1
	v_cmp_ne_u32_e32 vcc, 63, v2
	v_and_b32_e32 v5, 0x3c0, v0
	v_sub_u32_e64 v5, s18, v5 clamp
	v_addc_co_u32_e32 v4, vcc, 0, v1, vcc
	v_lshlrev_b32_e32 v4, 2, v4
	ds_bpermute_b32 v4, v4, v3
	v_add_u32_e32 v6, 1, v1
	v_cmp_lt_u32_e32 vcc, v6, v5
	v_add_u32_e32 v6, 2, v1
	s_waitcnt lgkmcnt(0)
	v_add_f32_e32 v4, v3, v4
	v_cndmask_b32_e32 v3, v3, v4, vcc
	v_cmp_gt_u32_e32 vcc, 62, v2
	s_nop 1
	v_cndmask_b32_e64 v4, 0, 1, vcc
	v_lshlrev_b32_e32 v4, 1, v4
	v_add_lshl_u32 v4, v4, v1, 2
	ds_bpermute_b32 v4, v4, v3
	v_cmp_lt_u32_e32 vcc, v6, v5
	v_add_u32_e32 v6, 4, v1
	s_waitcnt lgkmcnt(0)
	v_add_f32_e32 v4, v3, v4
	v_cndmask_b32_e32 v3, v3, v4, vcc
	v_cmp_gt_u32_e32 vcc, 60, v2
	s_nop 1
	v_cndmask_b32_e64 v4, 0, 1, vcc
	v_lshlrev_b32_e32 v4, 2, v4
	v_add_lshl_u32 v4, v4, v1, 2
	ds_bpermute_b32 v4, v4, v3
	;; [unrolled: 11-line block ×4, first 2 shown]
	v_cmp_lt_u32_e32 vcc, v6, v5
	s_waitcnt lgkmcnt(0)
	v_add_f32_e32 v4, v3, v4
	v_cndmask_b32_e32 v3, v3, v4, vcc
	v_cmp_gt_u32_e32 vcc, 32, v2
	v_add_u32_e32 v4, 32, v1
	s_nop 0
	v_cndmask_b32_e64 v2, 0, 1, vcc
	v_lshlrev_b32_e32 v2, 5, v2
	v_add_lshl_u32 v2, v2, v1, 2
	ds_bpermute_b32 v2, v2, v3
	v_cmp_lt_u32_e32 vcc, v4, v5
	s_waitcnt lgkmcnt(0)
	v_add_f32_e32 v2, v3, v2
	v_cndmask_b32_e32 v2, v3, v2, vcc
	v_cmp_eq_u32_e32 vcc, 0, v1
	s_and_saveexec_b64 s[4:5], vcc
	s_cbranch_execz .LBB12_22
; %bb.21:
	v_lshrrev_b32_e32 v3, 4, v0
	v_and_b32_e32 v3, 60, v3
	ds_write_b32 v3, v2
.LBB12_22:
	s_or_b64 exec, exec, s[4:5]
	v_cmp_gt_u32_e32 vcc, 16, v0
	s_waitcnt lgkmcnt(0)
	s_barrier
	s_and_saveexec_b64 s[6:7], vcc
	s_cbranch_execz .LBB12_24
; %bb.23:
	v_lshlrev_b32_e32 v2, 2, v1
	ds_read_b32 v2, v2
	v_and_b32_e32 v3, 15, v1
	v_cmp_ne_u32_e32 vcc, 15, v3
	s_add_i32 s4, s18, 63
	s_lshr_b32 s10, s4, 6
	v_addc_co_u32_e32 v4, vcc, 0, v1, vcc
	v_lshlrev_b32_e32 v4, 2, v4
	s_waitcnt lgkmcnt(0)
	ds_bpermute_b32 v4, v4, v2
	v_add_u32_e32 v5, 1, v3
	v_cmp_gt_u32_e64 s[4:5], 14, v3
	v_cmp_gt_u32_e32 vcc, s10, v5
	v_add_u32_e32 v6, 2, v3
	v_cndmask_b32_e64 v5, 0, 1, s[4:5]
	s_waitcnt lgkmcnt(0)
	v_add_f32_e32 v4, v2, v4
	v_lshlrev_b32_e32 v5, 1, v5
	v_cndmask_b32_e32 v4, v2, v4, vcc
	v_add_lshl_u32 v5, v5, v1, 2
	ds_bpermute_b32 v5, v5, v4
	v_cmp_gt_u32_e64 s[4:5], s10, v6
	v_add_u32_e32 v6, 4, v3
	s_waitcnt lgkmcnt(0)
	v_add_f32_e32 v5, v4, v5
	v_cndmask_b32_e64 v4, v4, v5, s[4:5]
	v_cmp_gt_u32_e64 s[4:5], 12, v3
	s_nop 1
	v_cndmask_b32_e64 v5, 0, 1, s[4:5]
	v_lshlrev_b32_e32 v5, 2, v5
	v_add_lshl_u32 v5, v5, v1, 2
	ds_bpermute_b32 v5, v5, v4
	v_cmp_gt_u32_e64 s[4:5], s10, v6
	s_waitcnt lgkmcnt(0)
	v_add_f32_e32 v5, v4, v5
	v_cndmask_b32_e64 v4, v4, v5, s[4:5]
	v_cmp_gt_u32_e64 s[4:5], 8, v3
	v_add_u32_e32 v3, 8, v3
	s_nop 0
	v_cndmask_b32_e64 v5, 0, 1, s[4:5]
	v_lshlrev_b32_e32 v5, 3, v5
	v_add_lshl_u32 v1, v5, v1, 2
	ds_bpermute_b32 v1, v1, v4
	v_cmp_gt_u32_e64 s[4:5], s10, v3
	s_waitcnt lgkmcnt(0)
	v_add_f32_e32 v1, v4, v1
	v_cndmask_b32_e64 v1, v4, v1, s[4:5]
	v_cndmask_b32_e32 v2, v2, v1, vcc
.LBB12_24:
	s_or_b64 exec, exec, s[6:7]
	v_cmp_eq_u32_e32 vcc, 0, v0
	s_and_saveexec_b64 s[4:5], vcc
	s_cbranch_execz .LBB12_26
; %bb.25:
	v_cvt_f32_i32_e32 v1, s3
	s_load_dword s10, s[0:1], 0x28
	v_div_scale_f32 v3, s[6:7], v1, v1, v2
	v_rcp_f32_e32 v4, v3
	v_div_scale_f32 v5, vcc, v2, v1, v2
	s_mov_b32 s6, 0x800000
	v_fma_f32 v6, -v3, v4, 1.0
	v_fmac_f32_e32 v4, v6, v4
	v_mul_f32_e32 v6, v5, v4
	v_fma_f32 v7, -v3, v6, v5
	v_fmac_f32_e32 v6, v7, v4
	v_fma_f32 v3, -v3, v6, v5
	v_div_fmas_f32 v3, v3, v4, v6
	v_div_fixup_f32 v1, v3, v1, v2
	s_waitcnt lgkmcnt(0)
	v_add_f32_e32 v1, s10, v1
	v_mul_f32_e32 v2, 0x4b800000, v1
	v_cmp_gt_f32_e32 vcc, s6, v1
	s_nop 1
	v_cndmask_b32_e32 v1, v1, v2, vcc
	v_rsq_f32_e32 v1, v1
	s_nop 0
	v_mul_f32_e32 v2, 0x45800000, v1
	v_cndmask_b32_e32 v1, v1, v2, vcc
	v_mov_b32_e32 v2, 0
	ds_write_b32 v2, v1 offset:64
.LBB12_26:
	s_or_b64 exec, exec, s[4:5]
	s_ashr_i32 s4, s3, 31
	s_lshr_b32 s4, s4, 30
	s_add_i32 s4, s3, s4
	s_ashr_i32 s12, s4, 2
	v_cmp_gt_i32_e32 vcc, s12, v0
	s_waitcnt lgkmcnt(0)
	s_barrier
	s_and_saveexec_b64 s[4:5], vcc
	s_cbranch_execz .LBB12_53
; %bb.27:
	s_load_dwordx4 s[4:7], s[0:1], 0x18
	s_load_dwordx2 s[10:11], s[0:1], 0x0
	s_mul_i32 s2, s2, s3
	v_mov_b32_e32 v3, 0
	ds_read_b32 v1, v3 offset:64
	s_waitcnt lgkmcnt(0)
	s_load_dword s3, s[6:7], 0x0
	s_lshl_b32 s13, s18, 2
	v_lshlrev_b32_e32 v2, 3, v0
	v_lshl_add_u32 v8, v0, 2, s2
	s_lshl_b32 s14, s18, 3
	s_waitcnt lgkmcnt(0)
	v_div_scale_f32 v4, s[0:1], s3, s3, 1.0
	v_rcp_f32_e32 v5, v4
	v_div_scale_f32 v6, vcc, 1.0, s3, 1.0
	s_mov_b64 s[0:1], 0
	v_fma_f32 v7, -v4, v5, 1.0
	v_fmac_f32_e32 v5, v7, v5
	v_mul_f32_e32 v7, v6, v5
	v_fma_f32 v9, -v4, v7, v6
	v_fmac_f32_e32 v7, v9, v5
	v_fma_f32 v4, -v4, v7, v6
	v_div_fmas_f32 v4, v4, v5, v7
	v_div_fixup_f32 v9, v4, s3, 1.0
	s_mov_b32 s15, 0x43f00000
	s_mov_b32 s16, 0x3c7fffff
	;; [unrolled: 1-line block ×4, first 2 shown]
	s_movk_i32 s20, 0x80
	s_branch .LBB12_30
.LBB12_28:                              ;   in Loop: Header=BB12_30 Depth=1
	s_or_b64 exec, exec, s[6:7]
.LBB12_29:                              ;   in Loop: Header=BB12_30 Depth=1
	s_or_b64 exec, exec, s[2:3]
	s_add_u32 s4, s4, s14
	s_addc_u32 s5, s5, 0
	v_add_u32_e32 v0, s18, v0
	s_add_u32 s8, s8, s14
	v_lshrrev_b32_e32 v5, 24, v5
	s_addc_u32 s9, s9, 0
	v_cmp_le_i32_e32 vcc, s12, v0
	v_and_or_b32 v4, v5, s20, v4
	v_add_u32_e32 v5, 3, v8
	s_or_b64 s[0:1], vcc, s[0:1]
	v_add_u32_e32 v8, s13, v8
	global_store_byte v5, v4, s[10:11]
	s_andn2_b64 exec, exec, s[0:1]
	s_cbranch_execz .LBB12_53
.LBB12_30:                              ; =>This Inner Loop Header: Depth=1
	v_lshl_add_u64 v[4:5], s[8:9], 0, v[2:3]
	global_load_dwordx2 v[4:5], v[4:5], off
	v_lshl_add_u64 v[6:7], s[4:5], 0, v[2:3]
	global_load_dwordx2 v[6:7], v[6:7], off
	v_mov_b32_e32 v12, 0x7f
	s_waitcnt vmcnt(1)
	v_fma_mixlo_f16 v10, v1, v4, 0 op_sel_hi:[0,1,0]
	s_waitcnt vmcnt(0)
	v_mul_f16_e32 v10, v6, v10
	v_cvt_f32_f16_e32 v11, v10
	v_mov_b32_e32 v10, 0x7f
	v_mul_f32_e32 v11, v9, v11
	v_min_f32_e32 v11, 0x43e00000, v11
	v_max_f32_e32 v11, 0xc3e00000, v11
	v_and_b32_e32 v13, 0x7fffffff, v11
	v_cmp_gt_u32_e32 vcc, s15, v13
	s_and_saveexec_b64 s[2:3], vcc
	s_cbranch_execz .LBB12_36
; %bb.31:                               ;   in Loop: Header=BB12_30 Depth=1
	v_cmp_lt_u32_e32 vcc, s16, v13
                                        ; implicit-def: $vgpr12
	s_and_saveexec_b64 s[6:7], vcc
	s_xor_b64 s[6:7], exec, s[6:7]
; %bb.32:                               ;   in Loop: Header=BB12_30 Depth=1
	v_bfe_u32 v12, v11, 20, 1
	v_add3_u32 v12, v11, v12, s17
	v_lshrrev_b32_e32 v12, 20, v12
; %bb.33:                               ;   in Loop: Header=BB12_30 Depth=1
	s_andn2_saveexec_b64 s[6:7], s[6:7]
; %bb.34:                               ;   in Loop: Header=BB12_30 Depth=1
	v_add_f32_e64 v12, |v11|, s19
; %bb.35:                               ;   in Loop: Header=BB12_30 Depth=1
	s_or_b64 exec, exec, s[6:7]
.LBB12_36:                              ;   in Loop: Header=BB12_30 Depth=1
	s_or_b64 exec, exec, s[2:3]
	v_fma_mixlo_f16 v4, v1, v4, 0 op_sel:[0,1,0] op_sel_hi:[0,1,0]
	v_mul_f16_sdwa v4, v6, v4 dst_sel:DWORD dst_unused:UNUSED_PAD src0_sel:WORD_1 src1_sel:DWORD
	v_cvt_f32_f16_e32 v4, v4
	v_lshrrev_b32_e32 v6, 24, v11
	v_and_or_b32 v6, v6, s20, v12
	global_store_byte v8, v6, s[10:11]
	v_mul_f32_e32 v4, v9, v4
	v_min_f32_e32 v4, 0x43e00000, v4
	v_max_f32_e32 v4, 0xc3e00000, v4
	v_and_b32_e32 v6, 0x7fffffff, v4
	v_cmp_gt_u32_e32 vcc, s15, v6
	s_and_saveexec_b64 s[2:3], vcc
	s_cbranch_execz .LBB12_42
; %bb.37:                               ;   in Loop: Header=BB12_30 Depth=1
	v_cmp_lt_u32_e32 vcc, s16, v6
                                        ; implicit-def: $vgpr10
	s_and_saveexec_b64 s[6:7], vcc
	s_xor_b64 s[6:7], exec, s[6:7]
; %bb.38:                               ;   in Loop: Header=BB12_30 Depth=1
	v_bfe_u32 v6, v4, 20, 1
	v_add3_u32 v6, v4, v6, s17
	v_lshrrev_b32_e32 v10, 20, v6
; %bb.39:                               ;   in Loop: Header=BB12_30 Depth=1
	s_andn2_saveexec_b64 s[6:7], s[6:7]
; %bb.40:                               ;   in Loop: Header=BB12_30 Depth=1
	v_add_f32_e64 v10, |v4|, s19
; %bb.41:                               ;   in Loop: Header=BB12_30 Depth=1
	s_or_b64 exec, exec, s[6:7]
.LBB12_42:                              ;   in Loop: Header=BB12_30 Depth=1
	s_or_b64 exec, exec, s[2:3]
	v_fma_mixlo_f16 v6, v1, v5, 0 op_sel_hi:[0,1,0]
	v_mul_f16_e32 v6, v7, v6
	v_cvt_f32_f16_e32 v6, v6
	v_lshrrev_b32_e32 v4, 24, v4
	v_and_or_b32 v4, v4, s20, v10
	v_add_u32_e32 v10, 1, v8
	global_store_byte v10, v4, s[10:11]
	v_mul_f32_e32 v4, v9, v6
	v_min_f32_e32 v4, 0x43e00000, v4
	v_max_f32_e32 v6, 0xc3e00000, v4
	v_and_b32_e32 v11, 0x7fffffff, v6
	v_cmp_gt_u32_e32 vcc, s15, v11
	v_mov_b32_e32 v4, 0x7f
	v_mov_b32_e32 v10, 0x7f
	s_and_saveexec_b64 s[2:3], vcc
	s_cbranch_execz .LBB12_48
; %bb.43:                               ;   in Loop: Header=BB12_30 Depth=1
	v_cmp_lt_u32_e32 vcc, s16, v11
                                        ; implicit-def: $vgpr10
	s_and_saveexec_b64 s[6:7], vcc
	s_xor_b64 s[6:7], exec, s[6:7]
; %bb.44:                               ;   in Loop: Header=BB12_30 Depth=1
	v_bfe_u32 v10, v6, 20, 1
	v_add3_u32 v10, v6, v10, s17
	v_lshrrev_b32_e32 v10, 20, v10
; %bb.45:                               ;   in Loop: Header=BB12_30 Depth=1
	s_andn2_saveexec_b64 s[6:7], s[6:7]
; %bb.46:                               ;   in Loop: Header=BB12_30 Depth=1
	v_add_f32_e64 v10, |v6|, s19
; %bb.47:                               ;   in Loop: Header=BB12_30 Depth=1
	s_or_b64 exec, exec, s[6:7]
.LBB12_48:                              ;   in Loop: Header=BB12_30 Depth=1
	s_or_b64 exec, exec, s[2:3]
	v_fma_mixlo_f16 v5, v1, v5, 0 op_sel:[0,1,0] op_sel_hi:[0,1,0]
	v_mul_f16_sdwa v5, v7, v5 dst_sel:DWORD dst_unused:UNUSED_PAD src0_sel:WORD_1 src1_sel:DWORD
	v_cvt_f32_f16_e32 v5, v5
	v_lshrrev_b32_e32 v6, 24, v6
	v_and_or_b32 v6, v6, s20, v10
	v_add_u32_e32 v7, 2, v8
	v_mul_f32_e32 v5, v9, v5
	v_min_f32_e32 v5, 0x43e00000, v5
	v_max_f32_e32 v5, 0xc3e00000, v5
	global_store_byte v7, v6, s[10:11]
	v_and_b32_e32 v6, 0x7fffffff, v5
	v_cmp_gt_u32_e32 vcc, s15, v6
	s_and_saveexec_b64 s[2:3], vcc
	s_cbranch_execz .LBB12_29
; %bb.49:                               ;   in Loop: Header=BB12_30 Depth=1
	v_cmp_lt_u32_e32 vcc, s16, v6
                                        ; implicit-def: $vgpr4
	s_and_saveexec_b64 s[6:7], vcc
	s_xor_b64 s[6:7], exec, s[6:7]
; %bb.50:                               ;   in Loop: Header=BB12_30 Depth=1
	v_bfe_u32 v4, v5, 20, 1
	v_add3_u32 v4, v5, v4, s17
	v_lshrrev_b32_e32 v4, 20, v4
; %bb.51:                               ;   in Loop: Header=BB12_30 Depth=1
	s_andn2_saveexec_b64 s[6:7], s[6:7]
	s_cbranch_execz .LBB12_28
; %bb.52:                               ;   in Loop: Header=BB12_30 Depth=1
	v_add_f32_e64 v4, |v5|, s19
	s_branch .LBB12_28
.LBB12_53:
	s_endpgm
	.section	.rodata,"a",@progbits
	.p2align	6, 0x0
	.amdhsa_kernel _ZN4vllm32rms_norm_static_fp8_quant_kernelIN3c104HalfENS1_13Float8_e4m3fnELi4EEEvPT0_PKT_iS8_PKffii
		.amdhsa_group_segment_fixed_size 68
		.amdhsa_private_segment_fixed_size 0
		.amdhsa_kernarg_size 312
		.amdhsa_user_sgpr_count 2
		.amdhsa_user_sgpr_dispatch_ptr 0
		.amdhsa_user_sgpr_queue_ptr 0
		.amdhsa_user_sgpr_kernarg_segment_ptr 1
		.amdhsa_user_sgpr_dispatch_id 0
		.amdhsa_user_sgpr_kernarg_preload_length 0
		.amdhsa_user_sgpr_kernarg_preload_offset 0
		.amdhsa_user_sgpr_private_segment_size 0
		.amdhsa_uses_dynamic_stack 0
		.amdhsa_enable_private_segment 0
		.amdhsa_system_sgpr_workgroup_id_x 1
		.amdhsa_system_sgpr_workgroup_id_y 0
		.amdhsa_system_sgpr_workgroup_id_z 0
		.amdhsa_system_sgpr_workgroup_info 0
		.amdhsa_system_vgpr_workitem_id 0
		.amdhsa_next_free_vgpr 14
		.amdhsa_next_free_sgpr 22
		.amdhsa_accum_offset 16
		.amdhsa_reserve_vcc 1
		.amdhsa_float_round_mode_32 0
		.amdhsa_float_round_mode_16_64 0
		.amdhsa_float_denorm_mode_32 3
		.amdhsa_float_denorm_mode_16_64 3
		.amdhsa_dx10_clamp 1
		.amdhsa_ieee_mode 1
		.amdhsa_fp16_overflow 0
		.amdhsa_tg_split 0
		.amdhsa_exception_fp_ieee_invalid_op 0
		.amdhsa_exception_fp_denorm_src 0
		.amdhsa_exception_fp_ieee_div_zero 0
		.amdhsa_exception_fp_ieee_overflow 0
		.amdhsa_exception_fp_ieee_underflow 0
		.amdhsa_exception_fp_ieee_inexact 0
		.amdhsa_exception_int_div_zero 0
	.end_amdhsa_kernel
	.section	.text._ZN4vllm32rms_norm_static_fp8_quant_kernelIN3c104HalfENS1_13Float8_e4m3fnELi4EEEvPT0_PKT_iS8_PKffii,"axG",@progbits,_ZN4vllm32rms_norm_static_fp8_quant_kernelIN3c104HalfENS1_13Float8_e4m3fnELi4EEEvPT0_PKT_iS8_PKffii,comdat
.Lfunc_end12:
	.size	_ZN4vllm32rms_norm_static_fp8_quant_kernelIN3c104HalfENS1_13Float8_e4m3fnELi4EEEvPT0_PKT_iS8_PKffii, .Lfunc_end12-_ZN4vllm32rms_norm_static_fp8_quant_kernelIN3c104HalfENS1_13Float8_e4m3fnELi4EEEvPT0_PKT_iS8_PKffii
                                        ; -- End function
	.section	.AMDGPU.csdata,"",@progbits
; Kernel info:
; codeLenInByte = 2432
; NumSgprs: 28
; NumVgprs: 14
; NumAgprs: 0
; TotalNumVgprs: 14
; ScratchSize: 0
; MemoryBound: 0
; FloatMode: 240
; IeeeMode: 1
; LDSByteSize: 68 bytes/workgroup (compile time only)
; SGPRBlocks: 3
; VGPRBlocks: 1
; NumSGPRsForWavesPerEU: 28
; NumVGPRsForWavesPerEU: 14
; AccumOffset: 16
; Occupancy: 8
; WaveLimiterHint : 0
; COMPUTE_PGM_RSRC2:SCRATCH_EN: 0
; COMPUTE_PGM_RSRC2:USER_SGPR: 2
; COMPUTE_PGM_RSRC2:TRAP_HANDLER: 0
; COMPUTE_PGM_RSRC2:TGID_X_EN: 1
; COMPUTE_PGM_RSRC2:TGID_Y_EN: 0
; COMPUTE_PGM_RSRC2:TGID_Z_EN: 0
; COMPUTE_PGM_RSRC2:TIDIG_COMP_CNT: 0
; COMPUTE_PGM_RSRC3_GFX90A:ACCUM_OFFSET: 3
; COMPUTE_PGM_RSRC3_GFX90A:TG_SPLIT: 0
	.section	.text._ZN4vllm32rms_norm_static_fp8_quant_kernelIN3c104HalfENS1_13Float8_e4m3fnELi2EEEvPT0_PKT_iS8_PKffii,"axG",@progbits,_ZN4vllm32rms_norm_static_fp8_quant_kernelIN3c104HalfENS1_13Float8_e4m3fnELi2EEEvPT0_PKT_iS8_PKffii,comdat
	.protected	_ZN4vllm32rms_norm_static_fp8_quant_kernelIN3c104HalfENS1_13Float8_e4m3fnELi2EEEvPT0_PKT_iS8_PKffii ; -- Begin function _ZN4vllm32rms_norm_static_fp8_quant_kernelIN3c104HalfENS1_13Float8_e4m3fnELi2EEEvPT0_PKT_iS8_PKffii
	.globl	_ZN4vllm32rms_norm_static_fp8_quant_kernelIN3c104HalfENS1_13Float8_e4m3fnELi2EEEvPT0_PKT_iS8_PKffii
	.p2align	8
	.type	_ZN4vllm32rms_norm_static_fp8_quant_kernelIN3c104HalfENS1_13Float8_e4m3fnELi2EEEvPT0_PKT_iS8_PKffii,@function
_ZN4vllm32rms_norm_static_fp8_quant_kernelIN3c104HalfENS1_13Float8_e4m3fnELi2EEEvPT0_PKT_iS8_PKffii: ; @_ZN4vllm32rms_norm_static_fp8_quant_kernelIN3c104HalfENS1_13Float8_e4m3fnELi2EEEvPT0_PKT_iS8_PKffii
; %bb.0:
	s_load_dword s6, s[0:1], 0x10
	s_load_dwordx2 s[4:5], s[0:1], 0x8
	s_load_dword s3, s[0:1], 0x30
	s_load_dword s12, s[0:1], 0x44
	s_mov_b32 s11, 0
	s_waitcnt lgkmcnt(0)
	s_mul_i32 s10, s2, s6
	s_lshl_b64 s[6:7], s[10:11], 1
	s_add_u32 s8, s4, s6
	s_addc_u32 s9, s5, s7
	s_and_b32 s18, s12, 0xffff
	s_and_b32 s10, s8, 3
	s_cmp_lg_u64 s[10:11], 0
	s_cselect_b64 s[10:11], -1, 0
	s_bitcmp1_b32 s3, 0
	s_cselect_b64 s[12:13], -1, 0
	s_or_b64 s[10:11], s[10:11], s[12:13]
	s_and_b64 vcc, exec, s[10:11]
	s_cbranch_vccz .LBB13_13
; %bb.1:
	s_sub_i32 s10, 0, s8
	s_bfe_u32 s10, s10, 0x10001
	s_min_i32 s10, s10, s3
	v_cmp_gt_i32_e32 vcc, s10, v0
	v_mov_b32_e32 v3, 0
	s_and_saveexec_b64 s[12:13], vcc
	s_cbranch_execz .LBB13_4
; %bb.2:
	s_lshl_b32 s11, s18, 1
	s_mov_b32 s16, 0
	v_mov_b32_e32 v1, 0
	s_mov_b64 s[14:15], s[8:9]
	v_mov_b32_e32 v3, 0
.LBB13_3:                               ; =>This Inner Loop Header: Depth=1
	global_load_ushort v2, v1, s[14:15]
	s_add_i32 s16, s16, s18
	s_add_u32 s14, s14, s11
	s_addc_u32 s15, s15, 0
	s_cmp_ge_i32 s16, s10
	s_waitcnt vmcnt(0)
	v_fma_mix_f32 v3, v2, v2, v3 op_sel_hi:[1,1,0]
	s_cbranch_scc0 .LBB13_3
.LBB13_4:
	s_or_b64 exec, exec, s[12:13]
	s_sub_i32 s19, s3, s10
	s_lshr_b32 s12, s19, 31
	s_add_i32 s12, s19, s12
	s_ashr_i32 s20, s12, 1
	s_ashr_i32 s11, s10, 31
	v_cmp_gt_i32_e32 vcc, s20, v0
	s_and_saveexec_b64 s[12:13], vcc
	s_cbranch_execz .LBB13_8
; %bb.5:
	s_lshl_b64 s[16:17], s[10:11], 1
	s_add_u32 s14, s4, s6
	s_addc_u32 s21, s5, s7
	s_add_u32 s16, s14, s16
	v_lshlrev_b32_e32 v4, 2, v0
	v_mov_b32_e32 v5, 0
	s_addc_u32 s17, s21, s17
	v_lshl_add_u64 v[4:5], s[16:17], 0, v[4:5]
	s_mov_b32 s15, 0
	v_lshl_add_u64 v[4:5], v[4:5], 0, 2
	s_lshl_b32 s14, s18, 2
	s_mov_b64 s[16:17], 0
	v_mov_b32_e32 v1, v0
.LBB13_6:                               ; =>This Inner Loop Header: Depth=1
	global_load_dword v2, v[4:5], off offset:-2
	v_add_u32_e32 v1, s18, v1
	v_cmp_le_i32_e32 vcc, s20, v1
	v_lshl_add_u64 v[4:5], v[4:5], 0, s[14:15]
	s_or_b64 s[16:17], vcc, s[16:17]
	s_waitcnt vmcnt(0)
	v_fma_mix_f32 v3, v2, v2, v3 op_sel_hi:[1,1,0]
	s_nop 0
	v_fma_mix_f32 v3, v2, v2, v3 op_sel:[1,1,0] op_sel_hi:[1,1,0]
	s_andn2_b64 exec, exec, s[16:17]
	s_cbranch_execnz .LBB13_6
; %bb.7:
	s_or_b64 exec, exec, s[16:17]
.LBB13_8:
	s_or_b64 exec, exec, s[12:13]
	v_lshl_add_u32 v4, s20, 1, v0
	v_cmp_gt_i32_e32 vcc, s19, v4
	s_and_saveexec_b64 s[12:13], vcc
	s_cbranch_execz .LBB13_12
; %bb.9:
	s_lshl_b64 s[10:11], s[10:11], 1
	s_add_u32 s14, s4, s6
	s_addc_u32 s15, s5, s7
	s_add_u32 s10, s14, s10
	v_ashrrev_i32_e32 v5, 31, v4
	s_addc_u32 s11, s15, s11
	v_lshl_add_u64 v[6:7], v[4:5], 1, s[10:11]
	s_lshl_b32 s10, s18, 1
	s_mov_b32 s11, 0
	s_mov_b64 s[14:15], 0
.LBB13_10:                              ; =>This Inner Loop Header: Depth=1
	global_load_ushort v1, v[6:7], off
	v_add_u32_e32 v4, s18, v4
	v_cmp_le_i32_e32 vcc, s19, v4
	v_lshl_add_u64 v[6:7], v[6:7], 0, s[10:11]
	s_or_b64 s[14:15], vcc, s[14:15]
	s_waitcnt vmcnt(0)
	v_fma_mix_f32 v3, v1, v1, v3 op_sel_hi:[1,1,0]
	s_andn2_b64 exec, exec, s[14:15]
	s_cbranch_execnz .LBB13_10
; %bb.11:
	s_or_b64 exec, exec, s[14:15]
.LBB13_12:
	s_or_b64 exec, exec, s[12:13]
	s_branch .LBB13_19
.LBB13_13:
                                        ; implicit-def: $vgpr3
	s_cbranch_execz .LBB13_19
; %bb.14:
	s_ashr_i32 s14, s3, 1
	v_cmp_gt_i32_e32 vcc, s14, v0
	v_mov_b32_e32 v3, 0
	s_and_saveexec_b64 s[10:11], vcc
	s_cbranch_execz .LBB13_18
; %bb.15:
	s_add_u32 s4, s4, s6
	v_lshlrev_b32_e32 v2, 2, v0
	v_mov_b32_e32 v3, 0
	s_addc_u32 s5, s5, s7
	v_lshl_add_u64 v[4:5], s[4:5], 0, v[2:3]
	s_mov_b32 s13, 0
	v_lshl_add_u64 v[4:5], v[4:5], 0, 2
	s_lshl_b32 s12, s18, 2
	s_mov_b64 s[4:5], 0
	v_mov_b32_e32 v1, v0
.LBB13_16:                              ; =>This Inner Loop Header: Depth=1
	global_load_dword v2, v[4:5], off offset:-2
	v_add_u32_e32 v1, s18, v1
	v_cmp_le_i32_e32 vcc, s14, v1
	v_lshl_add_u64 v[4:5], v[4:5], 0, s[12:13]
	s_or_b64 s[4:5], vcc, s[4:5]
	s_waitcnt vmcnt(0)
	v_fma_mix_f32 v3, v2, v2, v3 op_sel_hi:[1,1,0]
	s_nop 0
	v_fma_mix_f32 v3, v2, v2, v3 op_sel:[1,1,0] op_sel_hi:[1,1,0]
	s_andn2_b64 exec, exec, s[4:5]
	s_cbranch_execnz .LBB13_16
; %bb.17:
	s_or_b64 exec, exec, s[4:5]
.LBB13_18:
	s_or_b64 exec, exec, s[10:11]
.LBB13_19:
	v_mbcnt_lo_u32_b32 v1, -1, 0
	v_mbcnt_hi_u32_b32 v1, -1, v1
	v_and_b32_e32 v2, 63, v1
	v_cmp_ne_u32_e32 vcc, 63, v2
	v_and_b32_e32 v5, 0x3c0, v0
	v_sub_u32_e64 v5, s18, v5 clamp
	v_addc_co_u32_e32 v4, vcc, 0, v1, vcc
	v_lshlrev_b32_e32 v4, 2, v4
	ds_bpermute_b32 v4, v4, v3
	v_add_u32_e32 v6, 1, v1
	v_cmp_lt_u32_e32 vcc, v6, v5
	v_add_u32_e32 v6, 2, v1
	s_waitcnt lgkmcnt(0)
	v_add_f32_e32 v4, v3, v4
	v_cndmask_b32_e32 v3, v3, v4, vcc
	v_cmp_gt_u32_e32 vcc, 62, v2
	s_nop 1
	v_cndmask_b32_e64 v4, 0, 1, vcc
	v_lshlrev_b32_e32 v4, 1, v4
	v_add_lshl_u32 v4, v4, v1, 2
	ds_bpermute_b32 v4, v4, v3
	v_cmp_lt_u32_e32 vcc, v6, v5
	v_add_u32_e32 v6, 4, v1
	s_waitcnt lgkmcnt(0)
	v_add_f32_e32 v4, v3, v4
	v_cndmask_b32_e32 v3, v3, v4, vcc
	v_cmp_gt_u32_e32 vcc, 60, v2
	s_nop 1
	v_cndmask_b32_e64 v4, 0, 1, vcc
	v_lshlrev_b32_e32 v4, 2, v4
	v_add_lshl_u32 v4, v4, v1, 2
	ds_bpermute_b32 v4, v4, v3
	;; [unrolled: 11-line block ×4, first 2 shown]
	v_cmp_lt_u32_e32 vcc, v6, v5
	s_waitcnt lgkmcnt(0)
	v_add_f32_e32 v4, v3, v4
	v_cndmask_b32_e32 v3, v3, v4, vcc
	v_cmp_gt_u32_e32 vcc, 32, v2
	v_add_u32_e32 v4, 32, v1
	s_nop 0
	v_cndmask_b32_e64 v2, 0, 1, vcc
	v_lshlrev_b32_e32 v2, 5, v2
	v_add_lshl_u32 v2, v2, v1, 2
	ds_bpermute_b32 v2, v2, v3
	v_cmp_lt_u32_e32 vcc, v4, v5
	s_waitcnt lgkmcnt(0)
	v_add_f32_e32 v2, v3, v2
	v_cndmask_b32_e32 v2, v3, v2, vcc
	v_cmp_eq_u32_e32 vcc, 0, v1
	s_and_saveexec_b64 s[4:5], vcc
	s_cbranch_execz .LBB13_21
; %bb.20:
	v_lshrrev_b32_e32 v3, 4, v0
	v_and_b32_e32 v3, 60, v3
	ds_write_b32 v3, v2
.LBB13_21:
	s_or_b64 exec, exec, s[4:5]
	v_cmp_gt_u32_e32 vcc, 16, v0
	s_waitcnt lgkmcnt(0)
	s_barrier
	s_and_saveexec_b64 s[6:7], vcc
	s_cbranch_execz .LBB13_23
; %bb.22:
	v_lshlrev_b32_e32 v2, 2, v1
	ds_read_b32 v2, v2
	v_and_b32_e32 v3, 15, v1
	v_cmp_ne_u32_e32 vcc, 15, v3
	s_add_i32 s4, s18, 63
	s_lshr_b32 s10, s4, 6
	v_addc_co_u32_e32 v4, vcc, 0, v1, vcc
	v_lshlrev_b32_e32 v4, 2, v4
	s_waitcnt lgkmcnt(0)
	ds_bpermute_b32 v4, v4, v2
	v_add_u32_e32 v5, 1, v3
	v_cmp_gt_u32_e64 s[4:5], 14, v3
	v_cmp_gt_u32_e32 vcc, s10, v5
	v_add_u32_e32 v6, 2, v3
	v_cndmask_b32_e64 v5, 0, 1, s[4:5]
	s_waitcnt lgkmcnt(0)
	v_add_f32_e32 v4, v2, v4
	v_lshlrev_b32_e32 v5, 1, v5
	v_cndmask_b32_e32 v4, v2, v4, vcc
	v_add_lshl_u32 v5, v5, v1, 2
	ds_bpermute_b32 v5, v5, v4
	v_cmp_gt_u32_e64 s[4:5], s10, v6
	v_add_u32_e32 v6, 4, v3
	s_waitcnt lgkmcnt(0)
	v_add_f32_e32 v5, v4, v5
	v_cndmask_b32_e64 v4, v4, v5, s[4:5]
	v_cmp_gt_u32_e64 s[4:5], 12, v3
	s_nop 1
	v_cndmask_b32_e64 v5, 0, 1, s[4:5]
	v_lshlrev_b32_e32 v5, 2, v5
	v_add_lshl_u32 v5, v5, v1, 2
	ds_bpermute_b32 v5, v5, v4
	v_cmp_gt_u32_e64 s[4:5], s10, v6
	s_waitcnt lgkmcnt(0)
	v_add_f32_e32 v5, v4, v5
	v_cndmask_b32_e64 v4, v4, v5, s[4:5]
	v_cmp_gt_u32_e64 s[4:5], 8, v3
	v_add_u32_e32 v3, 8, v3
	s_nop 0
	v_cndmask_b32_e64 v5, 0, 1, s[4:5]
	v_lshlrev_b32_e32 v5, 3, v5
	v_add_lshl_u32 v1, v5, v1, 2
	ds_bpermute_b32 v1, v1, v4
	v_cmp_gt_u32_e64 s[4:5], s10, v3
	s_waitcnt lgkmcnt(0)
	v_add_f32_e32 v1, v4, v1
	v_cndmask_b32_e64 v1, v4, v1, s[4:5]
	v_cndmask_b32_e32 v2, v2, v1, vcc
.LBB13_23:
	s_or_b64 exec, exec, s[6:7]
	v_cmp_eq_u32_e32 vcc, 0, v0
	s_and_saveexec_b64 s[4:5], vcc
	s_cbranch_execz .LBB13_25
; %bb.24:
	v_cvt_f32_i32_e32 v1, s3
	s_load_dword s10, s[0:1], 0x28
	v_div_scale_f32 v3, s[6:7], v1, v1, v2
	v_rcp_f32_e32 v4, v3
	v_div_scale_f32 v5, vcc, v2, v1, v2
	s_mov_b32 s6, 0x800000
	v_fma_f32 v6, -v3, v4, 1.0
	v_fmac_f32_e32 v4, v6, v4
	v_mul_f32_e32 v6, v5, v4
	v_fma_f32 v7, -v3, v6, v5
	v_fmac_f32_e32 v6, v7, v4
	v_fma_f32 v3, -v3, v6, v5
	v_div_fmas_f32 v3, v3, v4, v6
	v_div_fixup_f32 v1, v3, v1, v2
	s_waitcnt lgkmcnt(0)
	v_add_f32_e32 v1, s10, v1
	v_mul_f32_e32 v2, 0x4b800000, v1
	v_cmp_gt_f32_e32 vcc, s6, v1
	s_nop 1
	v_cndmask_b32_e32 v1, v1, v2, vcc
	v_rsq_f32_e32 v1, v1
	s_nop 0
	v_mul_f32_e32 v2, 0x45800000, v1
	v_cndmask_b32_e32 v1, v1, v2, vcc
	v_mov_b32_e32 v2, 0
	ds_write_b32 v2, v1 offset:64
.LBB13_25:
	s_or_b64 exec, exec, s[4:5]
	s_lshr_b32 s4, s3, 31
	s_add_i32 s4, s3, s4
	s_ashr_i32 s14, s4, 1
	v_cmp_gt_i32_e32 vcc, s14, v0
	s_waitcnt lgkmcnt(0)
	s_barrier
	s_and_saveexec_b64 s[4:5], vcc
	s_cbranch_execz .LBB13_40
; %bb.26:
	s_load_dwordx4 s[4:7], s[0:1], 0x18
	s_load_dwordx2 s[10:11], s[0:1], 0x0
	s_mul_i32 s2, s2, s3
	v_mov_b32_e32 v3, 0
	ds_read_b32 v1, v3 offset:64
	s_waitcnt lgkmcnt(0)
	s_load_dword s3, s[6:7], 0x0
	s_lshl_b32 s15, s18, 1
	v_lshl_or_b32 v2, v0, 2, 2
	v_lshl_add_u32 v4, v0, 1, s2
	s_mov_b32 s16, 0x43f00000
	s_waitcnt lgkmcnt(0)
	v_div_scale_f32 v5, s[0:1], s3, s3, 1.0
	v_rcp_f32_e32 v6, v5
	v_div_scale_f32 v7, vcc, 1.0, s3, 1.0
	s_lshl_b32 s0, s18, 2
	v_fma_f32 v8, -v5, v6, 1.0
	v_fmac_f32_e32 v6, v8, v6
	v_mul_f32_e32 v8, v7, v6
	v_fma_f32 v9, -v5, v8, v7
	v_fmac_f32_e32 v8, v9, v6
	v_fma_f32 v5, -v5, v8, v7
	v_div_fmas_f32 v5, v5, v6, v8
	v_div_fixup_f32 v5, v5, s3, 1.0
	s_mov_b32 s1, 0
	s_mov_b64 s[2:3], 0
	s_mov_b32 s17, 0x3c7fffff
	s_mov_b32 s19, 0x407ffff
	;; [unrolled: 1-line block ×3, first 2 shown]
	s_movk_i32 s21, 0x80
	s_branch .LBB13_29
.LBB13_27:                              ;   in Loop: Header=BB13_29 Depth=1
	s_or_b64 exec, exec, s[12:13]
.LBB13_28:                              ;   in Loop: Header=BB13_29 Depth=1
	s_or_b64 exec, exec, s[6:7]
	v_add_u32_e32 v0, s18, v0
	v_lshrrev_b32_e32 v7, 24, v7
	v_cmp_le_i32_e32 vcc, s14, v0
	v_and_or_b32 v6, v7, s21, v6
	v_add_u32_e32 v7, 1, v4
	v_add_u32_e32 v4, s15, v4
	s_or_b64 s[2:3], vcc, s[2:3]
	v_lshl_add_u64 v[2:3], v[2:3], 0, s[0:1]
	global_store_byte v7, v6, s[10:11]
	s_andn2_b64 exec, exec, s[2:3]
	s_cbranch_execz .LBB13_40
.LBB13_29:                              ; =>This Inner Loop Header: Depth=1
	v_lshl_add_u64 v[6:7], s[8:9], 0, v[2:3]
	global_load_dword v7, v[6:7], off offset:-2
	v_lshl_add_u64 v[8:9], s[4:5], 0, v[2:3]
	global_load_dword v8, v[8:9], off offset:-2
	v_mov_b32_e32 v10, 0x7f
	s_waitcnt vmcnt(1)
	v_fma_mixlo_f16 v6, v1, v7, 0 op_sel_hi:[0,1,0]
	s_waitcnt vmcnt(0)
	v_mul_f16_e32 v6, v8, v6
	v_cvt_f32_f16_e32 v9, v6
	v_mov_b32_e32 v6, 0x7f
	v_mul_f32_e32 v9, v5, v9
	v_min_f32_e32 v9, 0x43e00000, v9
	v_max_f32_e32 v9, 0xc3e00000, v9
	v_and_b32_e32 v11, 0x7fffffff, v9
	v_cmp_gt_u32_e32 vcc, s16, v11
	s_and_saveexec_b64 s[6:7], vcc
	s_cbranch_execz .LBB13_35
; %bb.30:                               ;   in Loop: Header=BB13_29 Depth=1
	v_cmp_lt_u32_e32 vcc, s17, v11
                                        ; implicit-def: $vgpr10
	s_and_saveexec_b64 s[12:13], vcc
	s_xor_b64 s[12:13], exec, s[12:13]
; %bb.31:                               ;   in Loop: Header=BB13_29 Depth=1
	v_bfe_u32 v10, v9, 20, 1
	v_add3_u32 v10, v9, v10, s19
	v_lshrrev_b32_e32 v10, 20, v10
; %bb.32:                               ;   in Loop: Header=BB13_29 Depth=1
	s_andn2_saveexec_b64 s[12:13], s[12:13]
; %bb.33:                               ;   in Loop: Header=BB13_29 Depth=1
	v_add_f32_e64 v10, |v9|, s20
; %bb.34:                               ;   in Loop: Header=BB13_29 Depth=1
	s_or_b64 exec, exec, s[12:13]
.LBB13_35:                              ;   in Loop: Header=BB13_29 Depth=1
	s_or_b64 exec, exec, s[6:7]
	v_fma_mixlo_f16 v7, v1, v7, 0 op_sel:[0,1,0] op_sel_hi:[0,1,0]
	v_mul_f16_sdwa v7, v8, v7 dst_sel:DWORD dst_unused:UNUSED_PAD src0_sel:WORD_1 src1_sel:DWORD
	v_cvt_f32_f16_e32 v7, v7
	v_lshrrev_b32_e32 v8, 24, v9
	v_and_or_b32 v8, v8, s21, v10
	global_store_byte v4, v8, s[10:11]
	v_mul_f32_e32 v7, v5, v7
	v_min_f32_e32 v7, 0x43e00000, v7
	v_max_f32_e32 v7, 0xc3e00000, v7
	v_and_b32_e32 v8, 0x7fffffff, v7
	v_cmp_gt_u32_e32 vcc, s16, v8
	s_and_saveexec_b64 s[6:7], vcc
	s_cbranch_execz .LBB13_28
; %bb.36:                               ;   in Loop: Header=BB13_29 Depth=1
	v_cmp_lt_u32_e32 vcc, s17, v8
                                        ; implicit-def: $vgpr6
	s_and_saveexec_b64 s[12:13], vcc
	s_xor_b64 s[12:13], exec, s[12:13]
; %bb.37:                               ;   in Loop: Header=BB13_29 Depth=1
	v_bfe_u32 v6, v7, 20, 1
	v_add3_u32 v6, v7, v6, s19
	v_lshrrev_b32_e32 v6, 20, v6
; %bb.38:                               ;   in Loop: Header=BB13_29 Depth=1
	s_andn2_saveexec_b64 s[12:13], s[12:13]
	s_cbranch_execz .LBB13_27
; %bb.39:                               ;   in Loop: Header=BB13_29 Depth=1
	v_add_f32_e64 v6, |v7|, s20
	s_branch .LBB13_27
.LBB13_40:
	s_endpgm
	.section	.rodata,"a",@progbits
	.p2align	6, 0x0
	.amdhsa_kernel _ZN4vllm32rms_norm_static_fp8_quant_kernelIN3c104HalfENS1_13Float8_e4m3fnELi2EEEvPT0_PKT_iS8_PKffii
		.amdhsa_group_segment_fixed_size 68
		.amdhsa_private_segment_fixed_size 0
		.amdhsa_kernarg_size 312
		.amdhsa_user_sgpr_count 2
		.amdhsa_user_sgpr_dispatch_ptr 0
		.amdhsa_user_sgpr_queue_ptr 0
		.amdhsa_user_sgpr_kernarg_segment_ptr 1
		.amdhsa_user_sgpr_dispatch_id 0
		.amdhsa_user_sgpr_kernarg_preload_length 0
		.amdhsa_user_sgpr_kernarg_preload_offset 0
		.amdhsa_user_sgpr_private_segment_size 0
		.amdhsa_uses_dynamic_stack 0
		.amdhsa_enable_private_segment 0
		.amdhsa_system_sgpr_workgroup_id_x 1
		.amdhsa_system_sgpr_workgroup_id_y 0
		.amdhsa_system_sgpr_workgroup_id_z 0
		.amdhsa_system_sgpr_workgroup_info 0
		.amdhsa_system_vgpr_workitem_id 0
		.amdhsa_next_free_vgpr 12
		.amdhsa_next_free_sgpr 22
		.amdhsa_accum_offset 12
		.amdhsa_reserve_vcc 1
		.amdhsa_float_round_mode_32 0
		.amdhsa_float_round_mode_16_64 0
		.amdhsa_float_denorm_mode_32 3
		.amdhsa_float_denorm_mode_16_64 3
		.amdhsa_dx10_clamp 1
		.amdhsa_ieee_mode 1
		.amdhsa_fp16_overflow 0
		.amdhsa_tg_split 0
		.amdhsa_exception_fp_ieee_invalid_op 0
		.amdhsa_exception_fp_denorm_src 0
		.amdhsa_exception_fp_ieee_div_zero 0
		.amdhsa_exception_fp_ieee_overflow 0
		.amdhsa_exception_fp_ieee_underflow 0
		.amdhsa_exception_fp_ieee_inexact 0
		.amdhsa_exception_int_div_zero 0
	.end_amdhsa_kernel
	.section	.text._ZN4vllm32rms_norm_static_fp8_quant_kernelIN3c104HalfENS1_13Float8_e4m3fnELi2EEEvPT0_PKT_iS8_PKffii,"axG",@progbits,_ZN4vllm32rms_norm_static_fp8_quant_kernelIN3c104HalfENS1_13Float8_e4m3fnELi2EEEvPT0_PKT_iS8_PKffii,comdat
.Lfunc_end13:
	.size	_ZN4vllm32rms_norm_static_fp8_quant_kernelIN3c104HalfENS1_13Float8_e4m3fnELi2EEEvPT0_PKT_iS8_PKffii, .Lfunc_end13-_ZN4vllm32rms_norm_static_fp8_quant_kernelIN3c104HalfENS1_13Float8_e4m3fnELi2EEEvPT0_PKT_iS8_PKffii
                                        ; -- End function
	.section	.AMDGPU.csdata,"",@progbits
; Kernel info:
; codeLenInByte = 2056
; NumSgprs: 28
; NumVgprs: 12
; NumAgprs: 0
; TotalNumVgprs: 12
; ScratchSize: 0
; MemoryBound: 0
; FloatMode: 240
; IeeeMode: 1
; LDSByteSize: 68 bytes/workgroup (compile time only)
; SGPRBlocks: 3
; VGPRBlocks: 1
; NumSGPRsForWavesPerEU: 28
; NumVGPRsForWavesPerEU: 12
; AccumOffset: 12
; Occupancy: 8
; WaveLimiterHint : 0
; COMPUTE_PGM_RSRC2:SCRATCH_EN: 0
; COMPUTE_PGM_RSRC2:USER_SGPR: 2
; COMPUTE_PGM_RSRC2:TRAP_HANDLER: 0
; COMPUTE_PGM_RSRC2:TGID_X_EN: 1
; COMPUTE_PGM_RSRC2:TGID_Y_EN: 0
; COMPUTE_PGM_RSRC2:TGID_Z_EN: 0
; COMPUTE_PGM_RSRC2:TIDIG_COMP_CNT: 0
; COMPUTE_PGM_RSRC3_GFX90A:ACCUM_OFFSET: 2
; COMPUTE_PGM_RSRC3_GFX90A:TG_SPLIT: 0
	.section	.text._ZN4vllm32rms_norm_static_fp8_quant_kernelIN3c104HalfENS1_13Float8_e4m3fnELi1EEEvPT0_PKT_iS8_PKffii,"axG",@progbits,_ZN4vllm32rms_norm_static_fp8_quant_kernelIN3c104HalfENS1_13Float8_e4m3fnELi1EEEvPT0_PKT_iS8_PKffii,comdat
	.protected	_ZN4vllm32rms_norm_static_fp8_quant_kernelIN3c104HalfENS1_13Float8_e4m3fnELi1EEEvPT0_PKT_iS8_PKffii ; -- Begin function _ZN4vllm32rms_norm_static_fp8_quant_kernelIN3c104HalfENS1_13Float8_e4m3fnELi1EEEvPT0_PKT_iS8_PKffii
	.globl	_ZN4vllm32rms_norm_static_fp8_quant_kernelIN3c104HalfENS1_13Float8_e4m3fnELi1EEEvPT0_PKT_iS8_PKffii
	.p2align	8
	.type	_ZN4vllm32rms_norm_static_fp8_quant_kernelIN3c104HalfENS1_13Float8_e4m3fnELi1EEEvPT0_PKT_iS8_PKffii,@function
_ZN4vllm32rms_norm_static_fp8_quant_kernelIN3c104HalfENS1_13Float8_e4m3fnELi1EEEvPT0_PKT_iS8_PKffii: ; @_ZN4vllm32rms_norm_static_fp8_quant_kernelIN3c104HalfENS1_13Float8_e4m3fnELi1EEEvPT0_PKT_iS8_PKffii
; %bb.0:
	s_load_dword s3, s[0:1], 0x10
	s_load_dwordx2 s[6:7], s[0:1], 0x8
	s_load_dword s16, s[0:1], 0x30
	s_load_dword s12, s[0:1], 0x44
	s_mov_b32 s5, 0
	s_waitcnt lgkmcnt(0)
	s_mul_i32 s4, s2, s3
	s_lshl_b64 s[10:11], s[4:5], 1
	s_add_u32 s8, s6, s10
	s_addc_u32 s9, s7, s11
	s_and_b32 s17, s12, 0xffff
	s_bitcmp1_b32 s8, 0
	s_cselect_b64 s[4:5], -1, 0
	s_and_b64 vcc, exec, s[4:5]
	s_cbranch_vccz .LBB14_6
; %bb.1:
	s_min_i32 s12, s16, 0
	s_sub_i32 s3, s16, s12
	v_cmp_gt_i32_e32 vcc, s3, v0
	v_mov_b32_e32 v3, 0
	s_and_saveexec_b64 s[4:5], vcc
	s_cbranch_execz .LBB14_5
; %bb.2:
	s_ashr_i32 s13, s12, 31
	s_lshl_b64 s[14:15], s[12:13], 1
	s_add_u32 s12, s6, s10
	s_addc_u32 s18, s7, s11
	s_add_u32 s14, s12, s14
	v_lshlrev_b32_e32 v2, 1, v0
	v_mov_b32_e32 v3, 0
	s_addc_u32 s15, s18, s15
	s_mov_b32 s13, 0
	v_lshl_add_u64 v[4:5], s[14:15], 0, v[2:3]
	s_lshl_b32 s12, s17, 1
	s_mov_b64 s[14:15], 0
	v_mov_b32_e32 v1, v0
.LBB14_3:                               ; =>This Inner Loop Header: Depth=1
	global_load_ushort v2, v[4:5], off
	v_add_u32_e32 v1, s17, v1
	v_cmp_le_i32_e32 vcc, s3, v1
	v_lshl_add_u64 v[4:5], v[4:5], 0, s[12:13]
	s_or_b64 s[14:15], vcc, s[14:15]
	s_waitcnt vmcnt(0)
	v_fma_mix_f32 v3, v2, v2, v3 op_sel_hi:[1,1,0]
	s_andn2_b64 exec, exec, s[14:15]
	s_cbranch_execnz .LBB14_3
; %bb.4:
	s_or_b64 exec, exec, s[14:15]
.LBB14_5:
	s_or_b64 exec, exec, s[4:5]
	v_cmp_gt_i32_e64 s[4:5], s16, v0
	s_cbranch_execz .LBB14_7
	s_branch .LBB14_12
.LBB14_6:
                                        ; implicit-def: $vgpr3
	v_cmp_gt_i32_e64 s[4:5], s16, v0
.LBB14_7:
	v_mov_b32_e32 v3, 0
	s_and_saveexec_b64 s[12:13], s[4:5]
	s_cbranch_execz .LBB14_11
; %bb.8:
	s_add_u32 s6, s6, s10
	v_lshlrev_b32_e32 v2, 1, v0
	v_mov_b32_e32 v3, 0
	s_addc_u32 s7, s7, s11
	s_mov_b32 s5, 0
	v_lshl_add_u64 v[4:5], s[6:7], 0, v[2:3]
	s_lshl_b32 s4, s17, 1
	s_mov_b64 s[6:7], 0
	v_mov_b32_e32 v1, v0
.LBB14_9:                               ; =>This Inner Loop Header: Depth=1
	global_load_ushort v2, v[4:5], off
	v_add_u32_e32 v1, s17, v1
	v_cmp_le_i32_e32 vcc, s16, v1
	v_lshl_add_u64 v[4:5], v[4:5], 0, s[4:5]
	s_or_b64 s[6:7], vcc, s[6:7]
	s_waitcnt vmcnt(0)
	v_fma_mix_f32 v3, v2, v2, v3 op_sel_hi:[1,1,0]
	s_andn2_b64 exec, exec, s[6:7]
	s_cbranch_execnz .LBB14_9
; %bb.10:
	s_or_b64 exec, exec, s[6:7]
.LBB14_11:
	s_or_b64 exec, exec, s[12:13]
.LBB14_12:
	v_mbcnt_lo_u32_b32 v1, -1, 0
	v_mbcnt_hi_u32_b32 v1, -1, v1
	v_and_b32_e32 v2, 63, v1
	v_cmp_ne_u32_e32 vcc, 63, v2
	v_and_b32_e32 v5, 0x3c0, v0
	v_sub_u32_e64 v5, s17, v5 clamp
	v_addc_co_u32_e32 v4, vcc, 0, v1, vcc
	v_lshlrev_b32_e32 v4, 2, v4
	ds_bpermute_b32 v4, v4, v3
	v_add_u32_e32 v6, 1, v1
	v_cmp_lt_u32_e32 vcc, v6, v5
	v_add_u32_e32 v6, 2, v1
	s_waitcnt lgkmcnt(0)
	v_add_f32_e32 v4, v3, v4
	v_cndmask_b32_e32 v3, v3, v4, vcc
	v_cmp_gt_u32_e32 vcc, 62, v2
	s_nop 1
	v_cndmask_b32_e64 v4, 0, 1, vcc
	v_lshlrev_b32_e32 v4, 1, v4
	v_add_lshl_u32 v4, v4, v1, 2
	ds_bpermute_b32 v4, v4, v3
	v_cmp_lt_u32_e32 vcc, v6, v5
	v_add_u32_e32 v6, 4, v1
	s_waitcnt lgkmcnt(0)
	v_add_f32_e32 v4, v3, v4
	v_cndmask_b32_e32 v3, v3, v4, vcc
	v_cmp_gt_u32_e32 vcc, 60, v2
	s_nop 1
	v_cndmask_b32_e64 v4, 0, 1, vcc
	v_lshlrev_b32_e32 v4, 2, v4
	v_add_lshl_u32 v4, v4, v1, 2
	ds_bpermute_b32 v4, v4, v3
	;; [unrolled: 11-line block ×4, first 2 shown]
	v_cmp_lt_u32_e32 vcc, v6, v5
	s_waitcnt lgkmcnt(0)
	v_add_f32_e32 v4, v3, v4
	v_cndmask_b32_e32 v3, v3, v4, vcc
	v_cmp_gt_u32_e32 vcc, 32, v2
	v_add_u32_e32 v4, 32, v1
	s_nop 0
	v_cndmask_b32_e64 v2, 0, 1, vcc
	v_lshlrev_b32_e32 v2, 5, v2
	v_add_lshl_u32 v2, v2, v1, 2
	ds_bpermute_b32 v2, v2, v3
	v_cmp_lt_u32_e32 vcc, v4, v5
	s_waitcnt lgkmcnt(0)
	v_add_f32_e32 v2, v3, v2
	v_cndmask_b32_e32 v2, v3, v2, vcc
	v_cmp_eq_u32_e32 vcc, 0, v1
	s_and_saveexec_b64 s[4:5], vcc
	s_cbranch_execz .LBB14_14
; %bb.13:
	v_lshrrev_b32_e32 v3, 4, v0
	v_and_b32_e32 v3, 60, v3
	ds_write_b32 v3, v2
.LBB14_14:
	s_or_b64 exec, exec, s[4:5]
	v_cmp_gt_u32_e32 vcc, 16, v0
	s_waitcnt lgkmcnt(0)
	s_barrier
	s_and_saveexec_b64 s[6:7], vcc
	s_cbranch_execz .LBB14_16
; %bb.15:
	v_lshlrev_b32_e32 v2, 2, v1
	ds_read_b32 v2, v2
	v_and_b32_e32 v3, 15, v1
	v_cmp_ne_u32_e32 vcc, 15, v3
	s_add_i32 s3, s17, 63
	s_lshr_b32 s3, s3, 6
	v_addc_co_u32_e32 v4, vcc, 0, v1, vcc
	v_lshlrev_b32_e32 v4, 2, v4
	s_waitcnt lgkmcnt(0)
	ds_bpermute_b32 v4, v4, v2
	v_add_u32_e32 v5, 1, v3
	v_cmp_gt_u32_e64 s[4:5], 14, v3
	v_cmp_gt_u32_e32 vcc, s3, v5
	v_add_u32_e32 v6, 2, v3
	v_cndmask_b32_e64 v5, 0, 1, s[4:5]
	s_waitcnt lgkmcnt(0)
	v_add_f32_e32 v4, v2, v4
	v_lshlrev_b32_e32 v5, 1, v5
	v_cndmask_b32_e32 v4, v2, v4, vcc
	v_add_lshl_u32 v5, v5, v1, 2
	ds_bpermute_b32 v5, v5, v4
	v_cmp_gt_u32_e64 s[4:5], s3, v6
	v_add_u32_e32 v6, 4, v3
	s_waitcnt lgkmcnt(0)
	v_add_f32_e32 v5, v4, v5
	v_cndmask_b32_e64 v4, v4, v5, s[4:5]
	v_cmp_gt_u32_e64 s[4:5], 12, v3
	s_nop 1
	v_cndmask_b32_e64 v5, 0, 1, s[4:5]
	v_lshlrev_b32_e32 v5, 2, v5
	v_add_lshl_u32 v5, v5, v1, 2
	ds_bpermute_b32 v5, v5, v4
	v_cmp_gt_u32_e64 s[4:5], s3, v6
	s_waitcnt lgkmcnt(0)
	v_add_f32_e32 v5, v4, v5
	v_cndmask_b32_e64 v4, v4, v5, s[4:5]
	v_cmp_gt_u32_e64 s[4:5], 8, v3
	v_add_u32_e32 v3, 8, v3
	s_nop 0
	v_cndmask_b32_e64 v5, 0, 1, s[4:5]
	v_lshlrev_b32_e32 v5, 3, v5
	v_add_lshl_u32 v1, v5, v1, 2
	ds_bpermute_b32 v1, v1, v4
	v_cmp_gt_u32_e64 s[4:5], s3, v3
	s_waitcnt lgkmcnt(0)
	v_add_f32_e32 v1, v4, v1
	v_cndmask_b32_e64 v1, v4, v1, s[4:5]
	v_cndmask_b32_e32 v2, v2, v1, vcc
.LBB14_16:
	s_or_b64 exec, exec, s[6:7]
	v_cmp_eq_u32_e32 vcc, 0, v0
	s_and_saveexec_b64 s[4:5], vcc
	s_cbranch_execz .LBB14_18
; %bb.17:
	v_cvt_f32_i32_e32 v1, s16
	s_load_dword s3, s[0:1], 0x28
	v_div_scale_f32 v3, s[6:7], v1, v1, v2
	v_rcp_f32_e32 v4, v3
	v_div_scale_f32 v5, vcc, v2, v1, v2
	s_mov_b32 s6, 0x800000
	v_fma_f32 v6, -v3, v4, 1.0
	v_fmac_f32_e32 v4, v6, v4
	v_mul_f32_e32 v6, v5, v4
	v_fma_f32 v7, -v3, v6, v5
	v_fmac_f32_e32 v6, v7, v4
	v_fma_f32 v3, -v3, v6, v5
	v_div_fmas_f32 v3, v3, v4, v6
	v_div_fixup_f32 v1, v3, v1, v2
	s_waitcnt lgkmcnt(0)
	v_add_f32_e32 v1, s3, v1
	v_mul_f32_e32 v2, 0x4b800000, v1
	v_cmp_gt_f32_e32 vcc, s6, v1
	s_nop 1
	v_cndmask_b32_e32 v1, v1, v2, vcc
	v_rsq_f32_e32 v1, v1
	s_nop 0
	v_mul_f32_e32 v2, 0x45800000, v1
	v_cndmask_b32_e32 v1, v1, v2, vcc
	v_mov_b32_e32 v2, 0
	ds_write_b32 v2, v1 offset:64
.LBB14_18:
	s_or_b64 exec, exec, s[4:5]
	v_cmp_gt_i32_e32 vcc, s16, v0
	s_waitcnt lgkmcnt(0)
	s_barrier
	s_and_saveexec_b64 s[4:5], vcc
	s_cbranch_execz .LBB14_27
; %bb.19:
	s_load_dwordx4 s[4:7], s[0:1], 0x18
	s_load_dwordx2 s[10:11], s[0:1], 0x0
	s_mul_i32 s12, s2, s16
	v_mov_b32_e32 v1, 0
	ds_read_b32 v2, v1 offset:64
	s_waitcnt lgkmcnt(0)
	s_load_dword s6, s[6:7], 0x0
	s_mov_b64 s[0:1], 0
	s_mov_b32 s13, 0x43f00000
	s_mov_b32 s14, 0x3c7fffff
	;; [unrolled: 1-line block ×3, first 2 shown]
	s_waitcnt lgkmcnt(0)
	v_div_scale_f32 v3, s[2:3], s6, s6, 1.0
	v_rcp_f32_e32 v4, v3
	v_div_scale_f32 v1, vcc, 1.0, s6, 1.0
	s_mov_b32 s18, 0x46800000
	v_fma_f32 v5, -v3, v4, 1.0
	v_fmac_f32_e32 v4, v5, v4
	v_mul_f32_e32 v5, v1, v4
	v_fma_f32 v6, -v3, v5, v1
	v_fmac_f32_e32 v5, v6, v4
	v_fma_f32 v1, -v3, v5, v1
	v_div_fmas_f32 v1, v1, v4, v5
	v_div_fixup_f32 v3, v1, s6, 1.0
	s_movk_i32 s19, 0x80
	s_branch .LBB14_22
.LBB14_20:                              ;   in Loop: Header=BB14_22 Depth=1
	s_or_b64 exec, exec, s[6:7]
.LBB14_21:                              ;   in Loop: Header=BB14_22 Depth=1
	s_or_b64 exec, exec, s[2:3]
	v_lshrrev_b32_e32 v1, 24, v1
	v_and_or_b32 v1, v1, s19, v4
	v_add_u32_e32 v4, s12, v0
	v_add_u32_e32 v0, s17, v0
	v_cmp_le_i32_e32 vcc, s16, v0
	s_or_b64 s[0:1], vcc, s[0:1]
	global_store_byte v4, v1, s[10:11]
	s_andn2_b64 exec, exec, s[0:1]
	s_cbranch_execz .LBB14_27
.LBB14_22:                              ; =>This Inner Loop Header: Depth=1
	v_ashrrev_i32_e32 v1, 31, v0
	v_lshlrev_b64 v[4:5], 1, v[0:1]
	v_lshl_add_u64 v[6:7], s[8:9], 0, v[4:5]
	global_load_ushort v1, v[6:7], off
	v_lshl_add_u64 v[4:5], s[4:5], 0, v[4:5]
	global_load_ushort v4, v[4:5], off
	s_waitcnt vmcnt(1)
	v_fma_mixlo_f16 v1, v2, v1, 0 op_sel_hi:[0,1,0]
	s_waitcnt vmcnt(0)
	v_mul_f16_e32 v1, v4, v1
	v_cvt_f32_f16_e32 v1, v1
	v_mov_b32_e32 v4, 0x7f
	v_mul_f32_e32 v1, v3, v1
	v_min_f32_e32 v1, 0x43e00000, v1
	v_max_f32_e32 v1, 0xc3e00000, v1
	v_and_b32_e32 v5, 0x7fffffff, v1
	v_cmp_gt_u32_e32 vcc, s13, v5
	s_and_saveexec_b64 s[2:3], vcc
	s_cbranch_execz .LBB14_21
; %bb.23:                               ;   in Loop: Header=BB14_22 Depth=1
	v_cmp_lt_u32_e32 vcc, s14, v5
                                        ; implicit-def: $vgpr4
	s_and_saveexec_b64 s[6:7], vcc
	s_xor_b64 s[6:7], exec, s[6:7]
; %bb.24:                               ;   in Loop: Header=BB14_22 Depth=1
	v_bfe_u32 v4, v1, 20, 1
	v_add3_u32 v4, v1, v4, s15
	v_lshrrev_b32_e32 v4, 20, v4
; %bb.25:                               ;   in Loop: Header=BB14_22 Depth=1
	s_andn2_saveexec_b64 s[6:7], s[6:7]
	s_cbranch_execz .LBB14_20
; %bb.26:                               ;   in Loop: Header=BB14_22 Depth=1
	v_add_f32_e64 v4, |v1|, s18
	s_branch .LBB14_20
.LBB14_27:
	s_endpgm
	.section	.rodata,"a",@progbits
	.p2align	6, 0x0
	.amdhsa_kernel _ZN4vllm32rms_norm_static_fp8_quant_kernelIN3c104HalfENS1_13Float8_e4m3fnELi1EEEvPT0_PKT_iS8_PKffii
		.amdhsa_group_segment_fixed_size 68
		.amdhsa_private_segment_fixed_size 0
		.amdhsa_kernarg_size 312
		.amdhsa_user_sgpr_count 2
		.amdhsa_user_sgpr_dispatch_ptr 0
		.amdhsa_user_sgpr_queue_ptr 0
		.amdhsa_user_sgpr_kernarg_segment_ptr 1
		.amdhsa_user_sgpr_dispatch_id 0
		.amdhsa_user_sgpr_kernarg_preload_length 0
		.amdhsa_user_sgpr_kernarg_preload_offset 0
		.amdhsa_user_sgpr_private_segment_size 0
		.amdhsa_uses_dynamic_stack 0
		.amdhsa_enable_private_segment 0
		.amdhsa_system_sgpr_workgroup_id_x 1
		.amdhsa_system_sgpr_workgroup_id_y 0
		.amdhsa_system_sgpr_workgroup_id_z 0
		.amdhsa_system_sgpr_workgroup_info 0
		.amdhsa_system_vgpr_workitem_id 0
		.amdhsa_next_free_vgpr 8
		.amdhsa_next_free_sgpr 20
		.amdhsa_accum_offset 8
		.amdhsa_reserve_vcc 1
		.amdhsa_float_round_mode_32 0
		.amdhsa_float_round_mode_16_64 0
		.amdhsa_float_denorm_mode_32 3
		.amdhsa_float_denorm_mode_16_64 3
		.amdhsa_dx10_clamp 1
		.amdhsa_ieee_mode 1
		.amdhsa_fp16_overflow 0
		.amdhsa_tg_split 0
		.amdhsa_exception_fp_ieee_invalid_op 0
		.amdhsa_exception_fp_denorm_src 0
		.amdhsa_exception_fp_ieee_div_zero 0
		.amdhsa_exception_fp_ieee_overflow 0
		.amdhsa_exception_fp_ieee_underflow 0
		.amdhsa_exception_fp_ieee_inexact 0
		.amdhsa_exception_int_div_zero 0
	.end_amdhsa_kernel
	.section	.text._ZN4vllm32rms_norm_static_fp8_quant_kernelIN3c104HalfENS1_13Float8_e4m3fnELi1EEEvPT0_PKT_iS8_PKffii,"axG",@progbits,_ZN4vllm32rms_norm_static_fp8_quant_kernelIN3c104HalfENS1_13Float8_e4m3fnELi1EEEvPT0_PKT_iS8_PKffii,comdat
.Lfunc_end14:
	.size	_ZN4vllm32rms_norm_static_fp8_quant_kernelIN3c104HalfENS1_13Float8_e4m3fnELi1EEEvPT0_PKT_iS8_PKffii, .Lfunc_end14-_ZN4vllm32rms_norm_static_fp8_quant_kernelIN3c104HalfENS1_13Float8_e4m3fnELi1EEEvPT0_PKT_iS8_PKffii
                                        ; -- End function
	.section	.AMDGPU.csdata,"",@progbits
; Kernel info:
; codeLenInByte = 1608
; NumSgprs: 26
; NumVgprs: 8
; NumAgprs: 0
; TotalNumVgprs: 8
; ScratchSize: 0
; MemoryBound: 0
; FloatMode: 240
; IeeeMode: 1
; LDSByteSize: 68 bytes/workgroup (compile time only)
; SGPRBlocks: 3
; VGPRBlocks: 0
; NumSGPRsForWavesPerEU: 26
; NumVGPRsForWavesPerEU: 8
; AccumOffset: 8
; Occupancy: 8
; WaveLimiterHint : 0
; COMPUTE_PGM_RSRC2:SCRATCH_EN: 0
; COMPUTE_PGM_RSRC2:USER_SGPR: 2
; COMPUTE_PGM_RSRC2:TRAP_HANDLER: 0
; COMPUTE_PGM_RSRC2:TGID_X_EN: 1
; COMPUTE_PGM_RSRC2:TGID_Y_EN: 0
; COMPUTE_PGM_RSRC2:TGID_Z_EN: 0
; COMPUTE_PGM_RSRC2:TIDIG_COMP_CNT: 0
; COMPUTE_PGM_RSRC3_GFX90A:ACCUM_OFFSET: 1
; COMPUTE_PGM_RSRC3_GFX90A:TG_SPLIT: 0
	.section	.text._ZN4vllm32rms_norm_static_fp8_quant_kernelIN3c104HalfENS1_15Float8_e4m3fnuzELi16EEEvPT0_PKT_iS8_PKffii,"axG",@progbits,_ZN4vllm32rms_norm_static_fp8_quant_kernelIN3c104HalfENS1_15Float8_e4m3fnuzELi16EEEvPT0_PKT_iS8_PKffii,comdat
	.protected	_ZN4vllm32rms_norm_static_fp8_quant_kernelIN3c104HalfENS1_15Float8_e4m3fnuzELi16EEEvPT0_PKT_iS8_PKffii ; -- Begin function _ZN4vllm32rms_norm_static_fp8_quant_kernelIN3c104HalfENS1_15Float8_e4m3fnuzELi16EEEvPT0_PKT_iS8_PKffii
	.globl	_ZN4vllm32rms_norm_static_fp8_quant_kernelIN3c104HalfENS1_15Float8_e4m3fnuzELi16EEEvPT0_PKT_iS8_PKffii
	.p2align	8
	.type	_ZN4vllm32rms_norm_static_fp8_quant_kernelIN3c104HalfENS1_15Float8_e4m3fnuzELi16EEEvPT0_PKT_iS8_PKffii,@function
_ZN4vllm32rms_norm_static_fp8_quant_kernelIN3c104HalfENS1_15Float8_e4m3fnuzELi16EEEvPT0_PKT_iS8_PKffii: ; @_ZN4vllm32rms_norm_static_fp8_quant_kernelIN3c104HalfENS1_15Float8_e4m3fnuzELi16EEEvPT0_PKT_iS8_PKffii
; %bb.0:
	s_load_dword s6, s[0:1], 0x10
	s_load_dwordx2 s[4:5], s[0:1], 0x8
	s_load_dword s3, s[0:1], 0x30
	s_load_dword s12, s[0:1], 0x44
	s_mov_b32 s9, 0
	s_waitcnt lgkmcnt(0)
	s_mul_i32 s8, s2, s6
	s_lshl_b64 s[6:7], s[8:9], 1
	s_add_u32 s10, s4, s6
	s_addc_u32 s11, s5, s7
	s_and_b32 s18, s12, 0xffff
	s_and_b32 s8, s10, 31
	s_cmp_lg_u64 s[8:9], 0
	s_cselect_b64 s[8:9], -1, 0
	s_and_b32 s12, s3, 15
	s_cmp_lg_u32 s12, 0
	s_cselect_b64 s[12:13], -1, 0
	s_or_b64 s[8:9], s[8:9], s[12:13]
	s_and_b64 vcc, exec, s[8:9]
	s_cbranch_vccz .LBB15_14
; %bb.1:
	s_sub_i32 s8, 0, s10
	s_bfe_u32 s8, s8, 0x40001
	s_min_i32 s8, s8, s3
	v_cmp_gt_i32_e32 vcc, s8, v0
	v_mov_b32_e32 v3, 0
	s_and_saveexec_b64 s[12:13], vcc
	s_cbranch_execz .LBB15_5
; %bb.2:
	s_add_u32 s16, s4, s6
	v_lshlrev_b32_e32 v2, 1, v0
	v_mov_b32_e32 v3, 0
	s_addc_u32 s17, s5, s7
	s_mov_b32 s15, 0
	v_lshl_add_u64 v[4:5], s[16:17], 0, v[2:3]
	s_lshl_b32 s14, s18, 1
	s_mov_b64 s[16:17], 0
	v_mov_b32_e32 v1, v0
.LBB15_3:                               ; =>This Inner Loop Header: Depth=1
	global_load_ushort v2, v[4:5], off
	v_add_u32_e32 v1, s18, v1
	v_cmp_le_i32_e32 vcc, s8, v1
	v_lshl_add_u64 v[4:5], v[4:5], 0, s[14:15]
	s_or_b64 s[16:17], vcc, s[16:17]
	s_waitcnt vmcnt(0)
	v_fma_mix_f32 v3, v2, v2, v3 op_sel_hi:[1,1,0]
	s_andn2_b64 exec, exec, s[16:17]
	s_cbranch_execnz .LBB15_3
; %bb.4:
	s_or_b64 exec, exec, s[16:17]
.LBB15_5:
	s_or_b64 exec, exec, s[12:13]
	s_sub_i32 s19, s3, s8
	s_ashr_i32 s12, s19, 31
	s_lshr_b32 s12, s12, 28
	s_add_i32 s12, s19, s12
	s_ashr_i32 s20, s12, 4
	s_ashr_i32 s9, s8, 31
	v_cmp_gt_i32_e32 vcc, s20, v0
	s_and_saveexec_b64 s[12:13], vcc
	s_cbranch_execz .LBB15_9
; %bb.6:
	s_lshl_b64 s[16:17], s[8:9], 1
	s_add_u32 s14, s4, s6
	s_addc_u32 s21, s5, s7
	s_add_u32 s16, s14, s16
	v_lshlrev_b32_e32 v4, 5, v0
	v_mov_b32_e32 v5, 0
	s_addc_u32 s17, s21, s17
	s_mov_b32 s15, 0
	v_lshl_add_u64 v[4:5], s[16:17], 0, v[4:5]
	s_lshl_b32 s14, s18, 5
	s_mov_b64 s[16:17], 0
	v_mov_b32_e32 v1, v0
.LBB15_7:                               ; =>This Inner Loop Header: Depth=1
	global_load_dwordx4 v[6:9], v[4:5], off
	global_load_dwordx4 v[10:13], v[4:5], off offset:16
	v_add_u32_e32 v1, s18, v1
	v_cmp_le_i32_e32 vcc, s20, v1
	v_lshl_add_u64 v[4:5], v[4:5], 0, s[14:15]
	s_or_b64 s[16:17], vcc, s[16:17]
	s_waitcnt vmcnt(1)
	v_fma_mix_f32 v2, v6, v6, v3 op_sel_hi:[1,1,0]
	s_nop 0
	v_fma_mix_f32 v2, v6, v6, v2 op_sel:[1,1,0] op_sel_hi:[1,1,0]
	s_nop 0
	v_fma_mix_f32 v2, v7, v7, v2 op_sel_hi:[1,1,0]
	s_nop 0
	v_fma_mix_f32 v2, v7, v7, v2 op_sel:[1,1,0] op_sel_hi:[1,1,0]
	s_nop 0
	;; [unrolled: 4-line block ×3, first 2 shown]
	v_fma_mix_f32 v2, v9, v9, v2 op_sel_hi:[1,1,0]
	s_nop 0
	v_fma_mix_f32 v2, v9, v9, v2 op_sel:[1,1,0] op_sel_hi:[1,1,0]
	s_waitcnt vmcnt(0)
	v_fma_mix_f32 v2, v10, v10, v2 op_sel_hi:[1,1,0]
	s_nop 0
	v_fma_mix_f32 v2, v10, v10, v2 op_sel:[1,1,0] op_sel_hi:[1,1,0]
	s_nop 0
	v_fma_mix_f32 v2, v11, v11, v2 op_sel_hi:[1,1,0]
	s_nop 0
	v_fma_mix_f32 v2, v11, v11, v2 op_sel:[1,1,0] op_sel_hi:[1,1,0]
	s_nop 0
	;; [unrolled: 4-line block ×3, first 2 shown]
	v_fma_mix_f32 v2, v13, v13, v2 op_sel_hi:[1,1,0]
	s_nop 0
	v_fma_mix_f32 v3, v13, v13, v2 op_sel:[1,1,0] op_sel_hi:[1,1,0]
	s_andn2_b64 exec, exec, s[16:17]
	s_cbranch_execnz .LBB15_7
; %bb.8:
	s_or_b64 exec, exec, s[16:17]
.LBB15_9:
	s_or_b64 exec, exec, s[12:13]
	v_lshl_add_u32 v4, s20, 4, v0
	v_cmp_gt_i32_e32 vcc, s19, v4
	s_and_saveexec_b64 s[12:13], vcc
	s_cbranch_execz .LBB15_13
; %bb.10:
	s_lshl_b64 s[8:9], s[8:9], 1
	s_add_u32 s14, s4, s6
	s_addc_u32 s15, s5, s7
	s_add_u32 s8, s14, s8
	v_ashrrev_i32_e32 v5, 31, v4
	s_addc_u32 s9, s15, s9
	v_lshl_add_u64 v[6:7], v[4:5], 1, s[8:9]
	s_lshl_b32 s8, s18, 1
	s_mov_b32 s9, 0
	s_mov_b64 s[14:15], 0
.LBB15_11:                              ; =>This Inner Loop Header: Depth=1
	global_load_ushort v1, v[6:7], off
	v_add_u32_e32 v4, s18, v4
	v_cmp_le_i32_e32 vcc, s19, v4
	v_lshl_add_u64 v[6:7], v[6:7], 0, s[8:9]
	s_or_b64 s[14:15], vcc, s[14:15]
	s_waitcnt vmcnt(0)
	v_fma_mix_f32 v3, v1, v1, v3 op_sel_hi:[1,1,0]
	s_andn2_b64 exec, exec, s[14:15]
	s_cbranch_execnz .LBB15_11
; %bb.12:
	s_or_b64 exec, exec, s[14:15]
.LBB15_13:
	s_or_b64 exec, exec, s[12:13]
	s_branch .LBB15_20
.LBB15_14:
                                        ; implicit-def: $vgpr3
	s_cbranch_execz .LBB15_20
; %bb.15:
	s_ashr_i32 s14, s3, 4
	v_cmp_gt_i32_e32 vcc, s14, v0
	v_mov_b32_e32 v3, 0
	s_and_saveexec_b64 s[8:9], vcc
	s_cbranch_execz .LBB15_19
; %bb.16:
	s_add_u32 s4, s4, s6
	v_lshlrev_b32_e32 v2, 5, v0
	v_mov_b32_e32 v3, 0
	s_addc_u32 s5, s5, s7
	s_mov_b32 s13, 0
	v_lshl_add_u64 v[4:5], s[4:5], 0, v[2:3]
	s_lshl_b32 s12, s18, 5
	s_mov_b64 s[4:5], 0
	v_mov_b32_e32 v1, v0
.LBB15_17:                              ; =>This Inner Loop Header: Depth=1
	global_load_dwordx4 v[6:9], v[4:5], off
	global_load_dwordx4 v[10:13], v[4:5], off offset:16
	v_add_u32_e32 v1, s18, v1
	v_cmp_le_i32_e32 vcc, s14, v1
	v_lshl_add_u64 v[4:5], v[4:5], 0, s[12:13]
	s_or_b64 s[4:5], vcc, s[4:5]
	s_waitcnt vmcnt(1)
	v_fma_mix_f32 v2, v6, v6, v3 op_sel_hi:[1,1,0]
	s_nop 0
	v_fma_mix_f32 v2, v6, v6, v2 op_sel:[1,1,0] op_sel_hi:[1,1,0]
	s_nop 0
	v_fma_mix_f32 v2, v7, v7, v2 op_sel_hi:[1,1,0]
	s_nop 0
	v_fma_mix_f32 v2, v7, v7, v2 op_sel:[1,1,0] op_sel_hi:[1,1,0]
	s_nop 0
	;; [unrolled: 4-line block ×3, first 2 shown]
	v_fma_mix_f32 v2, v9, v9, v2 op_sel_hi:[1,1,0]
	s_nop 0
	v_fma_mix_f32 v2, v9, v9, v2 op_sel:[1,1,0] op_sel_hi:[1,1,0]
	s_waitcnt vmcnt(0)
	v_fma_mix_f32 v2, v10, v10, v2 op_sel_hi:[1,1,0]
	s_nop 0
	v_fma_mix_f32 v2, v10, v10, v2 op_sel:[1,1,0] op_sel_hi:[1,1,0]
	s_nop 0
	v_fma_mix_f32 v2, v11, v11, v2 op_sel_hi:[1,1,0]
	s_nop 0
	v_fma_mix_f32 v2, v11, v11, v2 op_sel:[1,1,0] op_sel_hi:[1,1,0]
	s_nop 0
	;; [unrolled: 4-line block ×3, first 2 shown]
	v_fma_mix_f32 v2, v13, v13, v2 op_sel_hi:[1,1,0]
	s_nop 0
	v_fma_mix_f32 v3, v13, v13, v2 op_sel:[1,1,0] op_sel_hi:[1,1,0]
	s_andn2_b64 exec, exec, s[4:5]
	s_cbranch_execnz .LBB15_17
; %bb.18:
	s_or_b64 exec, exec, s[4:5]
.LBB15_19:
	s_or_b64 exec, exec, s[8:9]
.LBB15_20:
	v_mbcnt_lo_u32_b32 v1, -1, 0
	v_mbcnt_hi_u32_b32 v1, -1, v1
	v_and_b32_e32 v2, 63, v1
	v_cmp_ne_u32_e32 vcc, 63, v2
	v_and_b32_e32 v5, 0x3c0, v0
	v_sub_u32_e64 v5, s18, v5 clamp
	v_addc_co_u32_e32 v4, vcc, 0, v1, vcc
	v_lshlrev_b32_e32 v4, 2, v4
	ds_bpermute_b32 v4, v4, v3
	v_add_u32_e32 v6, 1, v1
	v_cmp_lt_u32_e32 vcc, v6, v5
	v_add_u32_e32 v6, 2, v1
	s_waitcnt lgkmcnt(0)
	v_add_f32_e32 v4, v3, v4
	v_cndmask_b32_e32 v3, v3, v4, vcc
	v_cmp_gt_u32_e32 vcc, 62, v2
	s_nop 1
	v_cndmask_b32_e64 v4, 0, 1, vcc
	v_lshlrev_b32_e32 v4, 1, v4
	v_add_lshl_u32 v4, v4, v1, 2
	ds_bpermute_b32 v4, v4, v3
	v_cmp_lt_u32_e32 vcc, v6, v5
	v_add_u32_e32 v6, 4, v1
	s_waitcnt lgkmcnt(0)
	v_add_f32_e32 v4, v3, v4
	v_cndmask_b32_e32 v3, v3, v4, vcc
	v_cmp_gt_u32_e32 vcc, 60, v2
	s_nop 1
	v_cndmask_b32_e64 v4, 0, 1, vcc
	v_lshlrev_b32_e32 v4, 2, v4
	v_add_lshl_u32 v4, v4, v1, 2
	ds_bpermute_b32 v4, v4, v3
	;; [unrolled: 11-line block ×4, first 2 shown]
	v_cmp_lt_u32_e32 vcc, v6, v5
	s_waitcnt lgkmcnt(0)
	v_add_f32_e32 v4, v3, v4
	v_cndmask_b32_e32 v3, v3, v4, vcc
	v_cmp_gt_u32_e32 vcc, 32, v2
	v_add_u32_e32 v4, 32, v1
	s_nop 0
	v_cndmask_b32_e64 v2, 0, 1, vcc
	v_lshlrev_b32_e32 v2, 5, v2
	v_add_lshl_u32 v2, v2, v1, 2
	ds_bpermute_b32 v2, v2, v3
	v_cmp_lt_u32_e32 vcc, v4, v5
	s_waitcnt lgkmcnt(0)
	v_add_f32_e32 v2, v3, v2
	v_cndmask_b32_e32 v2, v3, v2, vcc
	v_cmp_eq_u32_e32 vcc, 0, v1
	s_and_saveexec_b64 s[4:5], vcc
	s_cbranch_execz .LBB15_22
; %bb.21:
	v_lshrrev_b32_e32 v3, 4, v0
	v_and_b32_e32 v3, 60, v3
	ds_write_b32 v3, v2
.LBB15_22:
	s_or_b64 exec, exec, s[4:5]
	v_cmp_gt_u32_e32 vcc, 16, v0
	s_waitcnt lgkmcnt(0)
	s_barrier
	s_and_saveexec_b64 s[6:7], vcc
	s_cbranch_execz .LBB15_24
; %bb.23:
	v_lshlrev_b32_e32 v2, 2, v1
	ds_read_b32 v2, v2
	v_and_b32_e32 v3, 15, v1
	v_cmp_ne_u32_e32 vcc, 15, v3
	s_add_i32 s4, s18, 63
	s_lshr_b32 s8, s4, 6
	v_addc_co_u32_e32 v4, vcc, 0, v1, vcc
	v_lshlrev_b32_e32 v4, 2, v4
	s_waitcnt lgkmcnt(0)
	ds_bpermute_b32 v4, v4, v2
	v_add_u32_e32 v5, 1, v3
	v_cmp_gt_u32_e64 s[4:5], 14, v3
	v_cmp_gt_u32_e32 vcc, s8, v5
	v_add_u32_e32 v6, 2, v3
	v_cndmask_b32_e64 v5, 0, 1, s[4:5]
	s_waitcnt lgkmcnt(0)
	v_add_f32_e32 v4, v2, v4
	v_lshlrev_b32_e32 v5, 1, v5
	v_cndmask_b32_e32 v4, v2, v4, vcc
	v_add_lshl_u32 v5, v5, v1, 2
	ds_bpermute_b32 v5, v5, v4
	v_cmp_gt_u32_e64 s[4:5], s8, v6
	v_add_u32_e32 v6, 4, v3
	s_waitcnt lgkmcnt(0)
	v_add_f32_e32 v5, v4, v5
	v_cndmask_b32_e64 v4, v4, v5, s[4:5]
	v_cmp_gt_u32_e64 s[4:5], 12, v3
	s_nop 1
	v_cndmask_b32_e64 v5, 0, 1, s[4:5]
	v_lshlrev_b32_e32 v5, 2, v5
	v_add_lshl_u32 v5, v5, v1, 2
	ds_bpermute_b32 v5, v5, v4
	v_cmp_gt_u32_e64 s[4:5], s8, v6
	s_waitcnt lgkmcnt(0)
	v_add_f32_e32 v5, v4, v5
	v_cndmask_b32_e64 v4, v4, v5, s[4:5]
	v_cmp_gt_u32_e64 s[4:5], 8, v3
	v_add_u32_e32 v3, 8, v3
	s_nop 0
	v_cndmask_b32_e64 v5, 0, 1, s[4:5]
	v_lshlrev_b32_e32 v5, 3, v5
	v_add_lshl_u32 v1, v5, v1, 2
	ds_bpermute_b32 v1, v1, v4
	v_cmp_gt_u32_e64 s[4:5], s8, v3
	s_waitcnt lgkmcnt(0)
	v_add_f32_e32 v1, v4, v1
	v_cndmask_b32_e64 v1, v4, v1, s[4:5]
	v_cndmask_b32_e32 v2, v2, v1, vcc
.LBB15_24:
	s_or_b64 exec, exec, s[6:7]
	v_cmp_eq_u32_e32 vcc, 0, v0
	s_and_saveexec_b64 s[4:5], vcc
	s_cbranch_execz .LBB15_26
; %bb.25:
	v_cvt_f32_i32_e32 v1, s3
	s_load_dword s8, s[0:1], 0x28
	v_div_scale_f32 v3, s[6:7], v1, v1, v2
	v_rcp_f32_e32 v4, v3
	v_div_scale_f32 v5, vcc, v2, v1, v2
	s_mov_b32 s6, 0x800000
	v_fma_f32 v6, -v3, v4, 1.0
	v_fmac_f32_e32 v4, v6, v4
	v_mul_f32_e32 v6, v5, v4
	v_fma_f32 v7, -v3, v6, v5
	v_fmac_f32_e32 v6, v7, v4
	v_fma_f32 v3, -v3, v6, v5
	v_div_fmas_f32 v3, v3, v4, v6
	v_div_fixup_f32 v1, v3, v1, v2
	s_waitcnt lgkmcnt(0)
	v_add_f32_e32 v1, s8, v1
	v_mul_f32_e32 v2, 0x4b800000, v1
	v_cmp_gt_f32_e32 vcc, s6, v1
	s_nop 1
	v_cndmask_b32_e32 v1, v1, v2, vcc
	v_rsq_f32_e32 v1, v1
	s_nop 0
	v_mul_f32_e32 v2, 0x45800000, v1
	v_cndmask_b32_e32 v1, v1, v2, vcc
	v_mov_b32_e32 v2, 0
	ds_write_b32 v2, v1 offset:64
.LBB15_26:
	s_or_b64 exec, exec, s[4:5]
	s_ashr_i32 s4, s3, 31
	s_lshr_b32 s4, s4, 28
	s_add_i32 s4, s3, s4
	s_ashr_i32 s19, s4, 4
	v_cmp_gt_i32_e32 vcc, s19, v0
	s_waitcnt lgkmcnt(0)
	s_barrier
	s_and_saveexec_b64 s[4:5], vcc
	s_cbranch_execz .LBB15_29
; %bb.27:
	s_load_dwordx4 s[12:15], s[0:1], 0x18
	s_load_dwordx2 s[16:17], s[0:1], 0x0
	s_mul_i32 s2, s2, s3
	v_mov_b32_e32 v3, 0
	ds_read_b32 v1, v3 offset:64
	s_waitcnt lgkmcnt(0)
	s_load_dword s3, s[14:15], 0x0
	s_lshl_b32 s20, s18, 4
	v_lshlrev_b32_e32 v2, 5, v0
	v_lshl_add_u32 v8, v0, 4, s2
	s_lshl_b32 s21, s18, 5
	s_waitcnt lgkmcnt(0)
	v_div_scale_f32 v4, s[0:1], s3, s3, 1.0
	v_rcp_f32_e32 v5, v4
	v_div_scale_f32 v6, vcc, 1.0, s3, 1.0
	s_mov_b64 s[14:15], 0
	v_fma_f32 v7, -v4, v5, 1.0
	v_fmac_f32_e32 v5, v7, v5
	v_mul_f32_e32 v7, v6, v5
	v_fma_f32 v9, -v4, v7, v6
	v_fmac_f32_e32 v7, v9, v5
	v_fma_f32 v4, -v4, v7, v6
	v_div_fmas_f32 v4, v4, v5, v7
	v_div_fixup_f32 v9, v4, s3, 1.0
	s_mov_b32 s22, 0x7f800000
	s_mov_b32 s23, 0x43700000
	v_mov_b32_e32 v10, 0xc3700000
.LBB15_28:                              ; =>This Inner Loop Header: Depth=1
	v_lshl_add_u64 v[4:5], s[10:11], 0, v[2:3]
	v_lshl_add_u64 v[6:7], s[12:13], 0, v[2:3]
	global_load_dwordx4 v[32:35], v[4:5], off
	global_load_dwordx4 v[36:39], v[4:5], off offset:16
	global_load_dwordx4 v[40:43], v[6:7], off
	global_load_dwordx4 v[44:47], v[6:7], off offset:16
	s_add_u32 s12, s12, s21
	s_addc_u32 s13, s13, 0
	v_add_u32_e32 v0, s18, v0
	s_add_u32 s10, s10, s21
	v_cmp_le_i32_e32 vcc, s19, v0
	s_addc_u32 s11, s11, 0
	s_or_b64 s[14:15], vcc, s[14:15]
	v_mov_b32_e32 v11, 0
	v_mov_b32_e32 v12, 0
	;; [unrolled: 1-line block ×16, first 2 shown]
	v_add_u32_e32 v13, 1, v8
	v_add_u32_e32 v15, 2, v8
	v_add_u32_e32 v17, 3, v8
	v_add_u32_e32 v19, 4, v8
	v_add_u32_e32 v21, 5, v8
	v_add_u32_e32 v23, 6, v8
	v_add_u32_e32 v25, 7, v8
	v_add_u32_e32 v27, 8, v8
	v_add_u32_e32 v29, 9, v8
	v_add_u32_e32 v31, 10, v8
	v_add_u32_e32 v49, 11, v8
	v_add_u32_e32 v51, 12, v8
	v_add_u32_e32 v53, 13, v8
	v_add_u32_e32 v55, 14, v8
	s_waitcnt vmcnt(3)
	v_fma_mixlo_f16 v4, v1, v32, 0 op_sel_hi:[0,1,0]
	v_fma_mixlo_f16 v5, v1, v32, 0 op_sel:[0,1,0] op_sel_hi:[0,1,0]
	s_waitcnt vmcnt(1)
	v_mul_f16_e32 v4, v40, v4
	v_fma_mixlo_f16 v6, v1, v33, 0 op_sel_hi:[0,1,0]
	v_mul_f16_sdwa v5, v40, v5 dst_sel:DWORD dst_unused:UNUSED_PAD src0_sel:WORD_1 src1_sel:DWORD
	v_cvt_f32_f16_e32 v4, v4
	v_fma_mixlo_f16 v7, v1, v33, 0 op_sel:[0,1,0] op_sel_hi:[0,1,0]
	v_mul_f16_e32 v6, v41, v6
	v_cvt_f32_f16_e32 v5, v5
	v_fma_mixlo_f16 v32, v1, v34, 0 op_sel_hi:[0,1,0]
	v_mul_f16_sdwa v7, v41, v7 dst_sel:DWORD dst_unused:UNUSED_PAD src0_sel:WORD_1 src1_sel:DWORD
	v_cvt_f32_f16_e32 v6, v6
	v_fma_mixlo_f16 v33, v1, v34, 0 op_sel:[0,1,0] op_sel_hi:[0,1,0]
	v_fma_mixlo_f16 v34, v1, v35, 0 op_sel_hi:[0,1,0]
	v_fma_mixlo_f16 v35, v1, v35, 0 op_sel:[0,1,0] op_sel_hi:[0,1,0]
	v_fma_mixlo_f16 v57, v1, v36, 0 op_sel_hi:[0,1,0]
	v_fma_mixlo_f16 v36, v1, v36, 0 op_sel:[0,1,0] op_sel_hi:[0,1,0]
	v_mul_f16_e32 v32, v42, v32
	v_cvt_f32_f16_e32 v7, v7
	v_fma_mixlo_f16 v58, v1, v37, 0 op_sel_hi:[0,1,0]
	v_mul_f16_sdwa v33, v42, v33 dst_sel:DWORD dst_unused:UNUSED_PAD src0_sel:WORD_1 src1_sel:DWORD
	v_mul_f16_e32 v34, v43, v34
	v_mul_f16_sdwa v35, v43, v35 dst_sel:DWORD dst_unused:UNUSED_PAD src0_sel:WORD_1 src1_sel:DWORD
	v_fma_mixlo_f16 v37, v1, v37, 0 op_sel:[0,1,0] op_sel_hi:[0,1,0]
	v_fma_mixlo_f16 v40, v1, v38, 0 op_sel_hi:[0,1,0]
	v_fma_mixlo_f16 v38, v1, v38, 0 op_sel:[0,1,0] op_sel_hi:[0,1,0]
	v_fma_mixlo_f16 v41, v1, v39, 0 op_sel_hi:[0,1,0]
	v_fma_mixlo_f16 v39, v1, v39, 0 op_sel:[0,1,0] op_sel_hi:[0,1,0]
	s_waitcnt vmcnt(0)
	v_mul_f16_e32 v43, v44, v57
	v_mul_f16_sdwa v36, v44, v36 dst_sel:DWORD dst_unused:UNUSED_PAD src0_sel:WORD_1 src1_sel:DWORD
	v_cvt_f32_f16_e32 v32, v32
	v_mul_f32_e32 v4, v9, v4
	v_mul_f16_e32 v44, v45, v58
	v_mul_f16_sdwa v37, v45, v37 dst_sel:DWORD dst_unused:UNUSED_PAD src0_sel:WORD_1 src1_sel:DWORD
	v_mul_f16_e32 v40, v46, v40
	v_mul_f16_sdwa v38, v46, v38 dst_sel:DWORD dst_unused:UNUSED_PAD src0_sel:WORD_1 src1_sel:DWORD
	;; [unrolled: 2-line block ×3, first 2 shown]
	v_cvt_f32_f16_e32 v33, v33
	v_cvt_f32_f16_e32 v34, v34
	;; [unrolled: 1-line block ×5, first 2 shown]
	v_mul_f32_e32 v5, v9, v5
	v_min_f32_e32 v4, 0x43600000, v4
	v_cvt_f32_f16_e32 v44, v44
	v_cvt_f32_f16_e32 v37, v37
	;; [unrolled: 1-line block ×6, first 2 shown]
	v_mul_f32_e32 v6, v9, v6
	v_min_f32_e32 v5, 0x43600000, v5
	v_max_f32_e32 v4, 0xc3600000, v4
	v_mul_f32_e32 v7, v9, v7
	v_min_f32_e32 v6, 0x43600000, v6
	v_max_f32_e32 v5, 0xc3600000, v5
	v_med3_f32 v45, v4, s23, v10
	v_cmp_nlg_f32_e64 vcc, |v4|, s22
	v_mul_f32_e32 v32, v9, v32
	v_min_f32_e32 v7, 0x43600000, v7
	v_max_f32_e32 v6, 0xc3600000, v6
	v_med3_f32 v46, v5, s23, v10
	v_cndmask_b32_e32 v4, v45, v4, vcc
	v_cmp_nlg_f32_e64 vcc, |v5|, s22
	v_mul_f32_e32 v33, v9, v33
	v_mul_f32_e32 v34, v9, v34
	;; [unrolled: 1-line block ×5, first 2 shown]
	v_min_f32_e32 v32, 0x43600000, v32
	v_max_f32_e32 v7, 0xc3600000, v7
	v_med3_f32 v47, v6, s23, v10
	v_cndmask_b32_e32 v5, v46, v5, vcc
	v_cmp_nlg_f32_e64 vcc, |v6|, s22
	v_mul_f32_e32 v44, v9, v44
	v_mul_f32_e32 v37, v9, v37
	;; [unrolled: 1-line block ×6, first 2 shown]
	v_min_f32_e32 v33, 0x43600000, v33
	v_min_f32_e32 v34, 0x43600000, v34
	;; [unrolled: 1-line block ×5, first 2 shown]
	v_max_f32_e32 v32, 0xc3600000, v32
	v_med3_f32 v57, v7, s23, v10
	v_cndmask_b32_e32 v6, v47, v6, vcc
	v_cmp_nlg_f32_e64 vcc, |v7|, s22
	v_min_f32_e32 v44, 0x43600000, v44
	v_min_f32_e32 v37, 0x43600000, v37
	v_min_f32_e32 v40, 0x43600000, v40
	v_min_f32_e32 v38, 0x43600000, v38
	v_min_f32_e32 v41, 0x43600000, v41
	v_min_f32_e32 v39, 0x43600000, v39
	v_max_f32_e32 v33, 0xc3600000, v33
	v_max_f32_e32 v34, 0xc3600000, v34
	;; [unrolled: 1-line block ×5, first 2 shown]
	v_med3_f32 v58, v32, s23, v10
	v_cndmask_b32_e32 v7, v57, v7, vcc
	v_cmp_nlg_f32_e64 vcc, |v32|, s22
	v_cvt_pk_fp8_f32 v11, v4, v4
	v_max_f32_e32 v44, 0xc3600000, v44
	v_max_f32_e32 v37, 0xc3600000, v37
	;; [unrolled: 1-line block ×6, first 2 shown]
	v_med3_f32 v59, v33, s23, v10
	v_med3_f32 v45, v34, s23, v10
	;; [unrolled: 1-line block ×5, first 2 shown]
	v_cndmask_b32_e32 v32, v58, v32, vcc
	v_cmp_nlg_f32_e64 vcc, |v33|, s22
	v_cmp_nlg_f32_e64 s[0:1], |v34|, s22
	v_cmp_nlg_f32_e64 s[2:3], |v35|, s22
	;; [unrolled: 1-line block ×4, first 2 shown]
	v_cvt_pk_fp8_f32 v12, v5, v5
	v_med3_f32 v58, v44, s23, v10
	v_cndmask_b32_e32 v33, v59, v33, vcc
	v_med3_f32 v59, v37, s23, v10
	v_cmp_nlg_f32_e64 vcc, |v37|, s22
	v_cndmask_b32_e64 v34, v45, v34, s[0:1]
	v_med3_f32 v45, v40, s23, v10
	v_cmp_nlg_f32_e64 s[0:1], |v40|, s22
	v_cndmask_b32_e64 v35, v46, v35, s[2:3]
	v_med3_f32 v46, v38, s23, v10
	v_cmp_nlg_f32_e64 s[2:3], |v38|, s22
	;; [unrolled: 3-line block ×4, first 2 shown]
	v_cmp_nlg_f32_e64 s[8:9], |v44|, s22
	v_cvt_pk_fp8_f32 v14, v6, v6
	v_cndmask_b32_e32 v37, v59, v37, vcc
	v_cndmask_b32_e64 v44, v58, v44, s[8:9]
	v_cndmask_b32_e64 v40, v45, v40, s[0:1]
	;; [unrolled: 1-line block ×5, first 2 shown]
	v_cvt_pk_fp8_f32 v16, v7, v7
	v_add_u32_e32 v42, 15, v8
	v_cvt_pk_fp8_f32 v18, v32, v32
	v_cvt_pk_fp8_f32 v20, v33, v33
	;; [unrolled: 1-line block ×12, first 2 shown]
	global_store_byte v8, v11, s[16:17]
	global_store_byte v13, v12, s[16:17]
	;; [unrolled: 1-line block ×16, first 2 shown]
	v_add_u32_e32 v8, s20, v8
	s_andn2_b64 exec, exec, s[14:15]
	s_cbranch_execnz .LBB15_28
.LBB15_29:
	s_endpgm
	.section	.rodata,"a",@progbits
	.p2align	6, 0x0
	.amdhsa_kernel _ZN4vllm32rms_norm_static_fp8_quant_kernelIN3c104HalfENS1_15Float8_e4m3fnuzELi16EEEvPT0_PKT_iS8_PKffii
		.amdhsa_group_segment_fixed_size 68
		.amdhsa_private_segment_fixed_size 0
		.amdhsa_kernarg_size 312
		.amdhsa_user_sgpr_count 2
		.amdhsa_user_sgpr_dispatch_ptr 0
		.amdhsa_user_sgpr_queue_ptr 0
		.amdhsa_user_sgpr_kernarg_segment_ptr 1
		.amdhsa_user_sgpr_dispatch_id 0
		.amdhsa_user_sgpr_kernarg_preload_length 0
		.amdhsa_user_sgpr_kernarg_preload_offset 0
		.amdhsa_user_sgpr_private_segment_size 0
		.amdhsa_uses_dynamic_stack 0
		.amdhsa_enable_private_segment 0
		.amdhsa_system_sgpr_workgroup_id_x 1
		.amdhsa_system_sgpr_workgroup_id_y 0
		.amdhsa_system_sgpr_workgroup_id_z 0
		.amdhsa_system_sgpr_workgroup_info 0
		.amdhsa_system_vgpr_workitem_id 0
		.amdhsa_next_free_vgpr 60
		.amdhsa_next_free_sgpr 24
		.amdhsa_accum_offset 60
		.amdhsa_reserve_vcc 1
		.amdhsa_float_round_mode_32 0
		.amdhsa_float_round_mode_16_64 0
		.amdhsa_float_denorm_mode_32 3
		.amdhsa_float_denorm_mode_16_64 3
		.amdhsa_dx10_clamp 1
		.amdhsa_ieee_mode 1
		.amdhsa_fp16_overflow 0
		.amdhsa_tg_split 0
		.amdhsa_exception_fp_ieee_invalid_op 0
		.amdhsa_exception_fp_denorm_src 0
		.amdhsa_exception_fp_ieee_div_zero 0
		.amdhsa_exception_fp_ieee_overflow 0
		.amdhsa_exception_fp_ieee_underflow 0
		.amdhsa_exception_fp_ieee_inexact 0
		.amdhsa_exception_int_div_zero 0
	.end_amdhsa_kernel
	.section	.text._ZN4vllm32rms_norm_static_fp8_quant_kernelIN3c104HalfENS1_15Float8_e4m3fnuzELi16EEEvPT0_PKT_iS8_PKffii,"axG",@progbits,_ZN4vllm32rms_norm_static_fp8_quant_kernelIN3c104HalfENS1_15Float8_e4m3fnuzELi16EEEvPT0_PKT_iS8_PKffii,comdat
.Lfunc_end15:
	.size	_ZN4vllm32rms_norm_static_fp8_quant_kernelIN3c104HalfENS1_15Float8_e4m3fnuzELi16EEEvPT0_PKT_iS8_PKffii, .Lfunc_end15-_ZN4vllm32rms_norm_static_fp8_quant_kernelIN3c104HalfENS1_15Float8_e4m3fnuzELi16EEEvPT0_PKT_iS8_PKffii
                                        ; -- End function
	.section	.AMDGPU.csdata,"",@progbits
; Kernel info:
; codeLenInByte = 3496
; NumSgprs: 30
; NumVgprs: 60
; NumAgprs: 0
; TotalNumVgprs: 60
; ScratchSize: 0
; MemoryBound: 0
; FloatMode: 240
; IeeeMode: 1
; LDSByteSize: 68 bytes/workgroup (compile time only)
; SGPRBlocks: 3
; VGPRBlocks: 7
; NumSGPRsForWavesPerEU: 30
; NumVGPRsForWavesPerEU: 60
; AccumOffset: 60
; Occupancy: 8
; WaveLimiterHint : 0
; COMPUTE_PGM_RSRC2:SCRATCH_EN: 0
; COMPUTE_PGM_RSRC2:USER_SGPR: 2
; COMPUTE_PGM_RSRC2:TRAP_HANDLER: 0
; COMPUTE_PGM_RSRC2:TGID_X_EN: 1
; COMPUTE_PGM_RSRC2:TGID_Y_EN: 0
; COMPUTE_PGM_RSRC2:TGID_Z_EN: 0
; COMPUTE_PGM_RSRC2:TIDIG_COMP_CNT: 0
; COMPUTE_PGM_RSRC3_GFX90A:ACCUM_OFFSET: 14
; COMPUTE_PGM_RSRC3_GFX90A:TG_SPLIT: 0
	.section	.text._ZN4vllm32rms_norm_static_fp8_quant_kernelIN3c104HalfENS1_15Float8_e4m3fnuzELi8EEEvPT0_PKT_iS8_PKffii,"axG",@progbits,_ZN4vllm32rms_norm_static_fp8_quant_kernelIN3c104HalfENS1_15Float8_e4m3fnuzELi8EEEvPT0_PKT_iS8_PKffii,comdat
	.protected	_ZN4vllm32rms_norm_static_fp8_quant_kernelIN3c104HalfENS1_15Float8_e4m3fnuzELi8EEEvPT0_PKT_iS8_PKffii ; -- Begin function _ZN4vllm32rms_norm_static_fp8_quant_kernelIN3c104HalfENS1_15Float8_e4m3fnuzELi8EEEvPT0_PKT_iS8_PKffii
	.globl	_ZN4vllm32rms_norm_static_fp8_quant_kernelIN3c104HalfENS1_15Float8_e4m3fnuzELi8EEEvPT0_PKT_iS8_PKffii
	.p2align	8
	.type	_ZN4vllm32rms_norm_static_fp8_quant_kernelIN3c104HalfENS1_15Float8_e4m3fnuzELi8EEEvPT0_PKT_iS8_PKffii,@function
_ZN4vllm32rms_norm_static_fp8_quant_kernelIN3c104HalfENS1_15Float8_e4m3fnuzELi8EEEvPT0_PKT_iS8_PKffii: ; @_ZN4vllm32rms_norm_static_fp8_quant_kernelIN3c104HalfENS1_15Float8_e4m3fnuzELi8EEEvPT0_PKT_iS8_PKffii
; %bb.0:
	s_load_dword s6, s[0:1], 0x10
	s_load_dwordx2 s[4:5], s[0:1], 0x8
	s_load_dword s3, s[0:1], 0x30
	s_load_dword s10, s[0:1], 0x44
	s_mov_b32 s9, 0
	s_waitcnt lgkmcnt(0)
	s_mul_i32 s8, s2, s6
	s_lshl_b64 s[6:7], s[8:9], 1
	s_add_u32 s14, s4, s6
	s_addc_u32 s15, s5, s7
	s_and_b32 s22, s10, 0xffff
	s_and_b32 s8, s14, 15
	s_cmp_lg_u64 s[8:9], 0
	s_cselect_b64 s[8:9], -1, 0
	s_and_b32 s10, s3, 7
	s_cmp_lg_u32 s10, 0
	s_cselect_b64 s[10:11], -1, 0
	s_or_b64 s[8:9], s[8:9], s[10:11]
	s_and_b64 vcc, exec, s[8:9]
	s_cbranch_vccz .LBB16_14
; %bb.1:
	s_sub_i32 s8, 0, s14
	s_bfe_u32 s8, s8, 0x30001
	s_min_i32 s8, s8, s3
	v_cmp_gt_i32_e32 vcc, s8, v0
	v_mov_b32_e32 v3, 0
	s_and_saveexec_b64 s[10:11], vcc
	s_cbranch_execz .LBB16_5
; %bb.2:
	s_add_u32 s16, s4, s6
	v_lshlrev_b32_e32 v2, 1, v0
	v_mov_b32_e32 v3, 0
	s_addc_u32 s17, s5, s7
	s_mov_b32 s13, 0
	v_lshl_add_u64 v[4:5], s[16:17], 0, v[2:3]
	s_lshl_b32 s12, s22, 1
	s_mov_b64 s[16:17], 0
	v_mov_b32_e32 v1, v0
.LBB16_3:                               ; =>This Inner Loop Header: Depth=1
	global_load_ushort v2, v[4:5], off
	v_add_u32_e32 v1, s22, v1
	v_cmp_le_i32_e32 vcc, s8, v1
	v_lshl_add_u64 v[4:5], v[4:5], 0, s[12:13]
	s_or_b64 s[16:17], vcc, s[16:17]
	s_waitcnt vmcnt(0)
	v_fma_mix_f32 v3, v2, v2, v3 op_sel_hi:[1,1,0]
	s_andn2_b64 exec, exec, s[16:17]
	s_cbranch_execnz .LBB16_3
; %bb.4:
	s_or_b64 exec, exec, s[16:17]
.LBB16_5:
	s_or_b64 exec, exec, s[10:11]
	s_sub_i32 s18, s3, s8
	s_ashr_i32 s10, s18, 31
	s_lshr_b32 s10, s10, 29
	s_add_i32 s10, s18, s10
	s_ashr_i32 s19, s10, 3
	s_ashr_i32 s9, s8, 31
	v_cmp_gt_i32_e32 vcc, s19, v0
	s_and_saveexec_b64 s[10:11], vcc
	s_cbranch_execz .LBB16_9
; %bb.6:
	s_lshl_b64 s[16:17], s[8:9], 1
	s_add_u32 s12, s4, s6
	s_addc_u32 s20, s5, s7
	s_add_u32 s16, s12, s16
	v_lshlrev_b32_e32 v4, 4, v0
	v_mov_b32_e32 v5, 0
	s_addc_u32 s17, s20, s17
	s_mov_b32 s13, 0
	v_lshl_add_u64 v[4:5], s[16:17], 0, v[4:5]
	s_lshl_b32 s12, s22, 4
	s_mov_b64 s[16:17], 0
	v_mov_b32_e32 v1, v0
.LBB16_7:                               ; =>This Inner Loop Header: Depth=1
	global_load_dwordx4 v[6:9], v[4:5], off
	v_add_u32_e32 v1, s22, v1
	v_cmp_le_i32_e32 vcc, s19, v1
	v_lshl_add_u64 v[4:5], v[4:5], 0, s[12:13]
	s_or_b64 s[16:17], vcc, s[16:17]
	s_waitcnt vmcnt(0)
	v_fma_mix_f32 v2, v6, v6, v3 op_sel_hi:[1,1,0]
	s_nop 0
	v_fma_mix_f32 v2, v6, v6, v2 op_sel:[1,1,0] op_sel_hi:[1,1,0]
	s_nop 0
	v_fma_mix_f32 v2, v7, v7, v2 op_sel_hi:[1,1,0]
	s_nop 0
	v_fma_mix_f32 v2, v7, v7, v2 op_sel:[1,1,0] op_sel_hi:[1,1,0]
	s_nop 0
	;; [unrolled: 4-line block ×3, first 2 shown]
	v_fma_mix_f32 v2, v9, v9, v2 op_sel_hi:[1,1,0]
	s_nop 0
	v_fma_mix_f32 v3, v9, v9, v2 op_sel:[1,1,0] op_sel_hi:[1,1,0]
	s_andn2_b64 exec, exec, s[16:17]
	s_cbranch_execnz .LBB16_7
; %bb.8:
	s_or_b64 exec, exec, s[16:17]
.LBB16_9:
	s_or_b64 exec, exec, s[10:11]
	v_lshl_add_u32 v4, s19, 3, v0
	v_cmp_gt_i32_e32 vcc, s18, v4
	s_and_saveexec_b64 s[10:11], vcc
	s_cbranch_execz .LBB16_13
; %bb.10:
	s_lshl_b64 s[8:9], s[8:9], 1
	s_add_u32 s12, s4, s6
	s_addc_u32 s13, s5, s7
	s_add_u32 s8, s12, s8
	v_ashrrev_i32_e32 v5, 31, v4
	s_addc_u32 s9, s13, s9
	v_lshl_add_u64 v[6:7], v[4:5], 1, s[8:9]
	s_lshl_b32 s8, s22, 1
	s_mov_b32 s9, 0
	s_mov_b64 s[12:13], 0
.LBB16_11:                              ; =>This Inner Loop Header: Depth=1
	global_load_ushort v1, v[6:7], off
	v_add_u32_e32 v4, s22, v4
	v_cmp_le_i32_e32 vcc, s18, v4
	v_lshl_add_u64 v[6:7], v[6:7], 0, s[8:9]
	s_or_b64 s[12:13], vcc, s[12:13]
	s_waitcnt vmcnt(0)
	v_fma_mix_f32 v3, v1, v1, v3 op_sel_hi:[1,1,0]
	s_andn2_b64 exec, exec, s[12:13]
	s_cbranch_execnz .LBB16_11
; %bb.12:
	s_or_b64 exec, exec, s[12:13]
.LBB16_13:
	s_or_b64 exec, exec, s[10:11]
	s_branch .LBB16_20
.LBB16_14:
                                        ; implicit-def: $vgpr3
	s_cbranch_execz .LBB16_20
; %bb.15:
	s_ashr_i32 s12, s3, 3
	v_cmp_gt_i32_e32 vcc, s12, v0
	v_mov_b32_e32 v3, 0
	s_and_saveexec_b64 s[8:9], vcc
	s_cbranch_execz .LBB16_19
; %bb.16:
	s_add_u32 s4, s4, s6
	v_lshlrev_b32_e32 v2, 4, v0
	v_mov_b32_e32 v3, 0
	s_addc_u32 s5, s5, s7
	s_mov_b32 s11, 0
	v_lshl_add_u64 v[4:5], s[4:5], 0, v[2:3]
	s_lshl_b32 s10, s22, 4
	s_mov_b64 s[4:5], 0
	v_mov_b32_e32 v1, v0
.LBB16_17:                              ; =>This Inner Loop Header: Depth=1
	global_load_dwordx4 v[6:9], v[4:5], off
	v_add_u32_e32 v1, s22, v1
	v_cmp_le_i32_e32 vcc, s12, v1
	v_lshl_add_u64 v[4:5], v[4:5], 0, s[10:11]
	s_or_b64 s[4:5], vcc, s[4:5]
	s_waitcnt vmcnt(0)
	v_fma_mix_f32 v2, v6, v6, v3 op_sel_hi:[1,1,0]
	s_nop 0
	v_fma_mix_f32 v2, v6, v6, v2 op_sel:[1,1,0] op_sel_hi:[1,1,0]
	s_nop 0
	v_fma_mix_f32 v2, v7, v7, v2 op_sel_hi:[1,1,0]
	s_nop 0
	v_fma_mix_f32 v2, v7, v7, v2 op_sel:[1,1,0] op_sel_hi:[1,1,0]
	s_nop 0
	;; [unrolled: 4-line block ×3, first 2 shown]
	v_fma_mix_f32 v2, v9, v9, v2 op_sel_hi:[1,1,0]
	s_nop 0
	v_fma_mix_f32 v3, v9, v9, v2 op_sel:[1,1,0] op_sel_hi:[1,1,0]
	s_andn2_b64 exec, exec, s[4:5]
	s_cbranch_execnz .LBB16_17
; %bb.18:
	s_or_b64 exec, exec, s[4:5]
.LBB16_19:
	s_or_b64 exec, exec, s[8:9]
.LBB16_20:
	v_mbcnt_lo_u32_b32 v1, -1, 0
	v_mbcnt_hi_u32_b32 v1, -1, v1
	v_and_b32_e32 v2, 63, v1
	v_cmp_ne_u32_e32 vcc, 63, v2
	v_and_b32_e32 v5, 0x3c0, v0
	v_sub_u32_e64 v5, s22, v5 clamp
	v_addc_co_u32_e32 v4, vcc, 0, v1, vcc
	v_lshlrev_b32_e32 v4, 2, v4
	ds_bpermute_b32 v4, v4, v3
	v_add_u32_e32 v6, 1, v1
	v_cmp_lt_u32_e32 vcc, v6, v5
	v_add_u32_e32 v6, 2, v1
	s_waitcnt lgkmcnt(0)
	v_add_f32_e32 v4, v3, v4
	v_cndmask_b32_e32 v3, v3, v4, vcc
	v_cmp_gt_u32_e32 vcc, 62, v2
	s_nop 1
	v_cndmask_b32_e64 v4, 0, 1, vcc
	v_lshlrev_b32_e32 v4, 1, v4
	v_add_lshl_u32 v4, v4, v1, 2
	ds_bpermute_b32 v4, v4, v3
	v_cmp_lt_u32_e32 vcc, v6, v5
	v_add_u32_e32 v6, 4, v1
	s_waitcnt lgkmcnt(0)
	v_add_f32_e32 v4, v3, v4
	v_cndmask_b32_e32 v3, v3, v4, vcc
	v_cmp_gt_u32_e32 vcc, 60, v2
	s_nop 1
	v_cndmask_b32_e64 v4, 0, 1, vcc
	v_lshlrev_b32_e32 v4, 2, v4
	v_add_lshl_u32 v4, v4, v1, 2
	ds_bpermute_b32 v4, v4, v3
	;; [unrolled: 11-line block ×4, first 2 shown]
	v_cmp_lt_u32_e32 vcc, v6, v5
	s_waitcnt lgkmcnt(0)
	v_add_f32_e32 v4, v3, v4
	v_cndmask_b32_e32 v3, v3, v4, vcc
	v_cmp_gt_u32_e32 vcc, 32, v2
	v_add_u32_e32 v4, 32, v1
	s_nop 0
	v_cndmask_b32_e64 v2, 0, 1, vcc
	v_lshlrev_b32_e32 v2, 5, v2
	v_add_lshl_u32 v2, v2, v1, 2
	ds_bpermute_b32 v2, v2, v3
	v_cmp_lt_u32_e32 vcc, v4, v5
	s_waitcnt lgkmcnt(0)
	v_add_f32_e32 v2, v3, v2
	v_cndmask_b32_e32 v2, v3, v2, vcc
	v_cmp_eq_u32_e32 vcc, 0, v1
	s_and_saveexec_b64 s[4:5], vcc
	s_cbranch_execz .LBB16_22
; %bb.21:
	v_lshrrev_b32_e32 v3, 4, v0
	v_and_b32_e32 v3, 60, v3
	ds_write_b32 v3, v2
.LBB16_22:
	s_or_b64 exec, exec, s[4:5]
	v_cmp_gt_u32_e32 vcc, 16, v0
	s_waitcnt lgkmcnt(0)
	s_barrier
	s_and_saveexec_b64 s[6:7], vcc
	s_cbranch_execz .LBB16_24
; %bb.23:
	v_lshlrev_b32_e32 v2, 2, v1
	ds_read_b32 v2, v2
	v_and_b32_e32 v3, 15, v1
	v_cmp_ne_u32_e32 vcc, 15, v3
	s_add_i32 s4, s22, 63
	s_lshr_b32 s8, s4, 6
	v_addc_co_u32_e32 v4, vcc, 0, v1, vcc
	v_lshlrev_b32_e32 v4, 2, v4
	s_waitcnt lgkmcnt(0)
	ds_bpermute_b32 v4, v4, v2
	v_add_u32_e32 v5, 1, v3
	v_cmp_gt_u32_e64 s[4:5], 14, v3
	v_cmp_gt_u32_e32 vcc, s8, v5
	v_add_u32_e32 v6, 2, v3
	v_cndmask_b32_e64 v5, 0, 1, s[4:5]
	s_waitcnt lgkmcnt(0)
	v_add_f32_e32 v4, v2, v4
	v_lshlrev_b32_e32 v5, 1, v5
	v_cndmask_b32_e32 v4, v2, v4, vcc
	v_add_lshl_u32 v5, v5, v1, 2
	ds_bpermute_b32 v5, v5, v4
	v_cmp_gt_u32_e64 s[4:5], s8, v6
	v_add_u32_e32 v6, 4, v3
	s_waitcnt lgkmcnt(0)
	v_add_f32_e32 v5, v4, v5
	v_cndmask_b32_e64 v4, v4, v5, s[4:5]
	v_cmp_gt_u32_e64 s[4:5], 12, v3
	s_nop 1
	v_cndmask_b32_e64 v5, 0, 1, s[4:5]
	v_lshlrev_b32_e32 v5, 2, v5
	v_add_lshl_u32 v5, v5, v1, 2
	ds_bpermute_b32 v5, v5, v4
	v_cmp_gt_u32_e64 s[4:5], s8, v6
	s_waitcnt lgkmcnt(0)
	v_add_f32_e32 v5, v4, v5
	v_cndmask_b32_e64 v4, v4, v5, s[4:5]
	v_cmp_gt_u32_e64 s[4:5], 8, v3
	v_add_u32_e32 v3, 8, v3
	s_nop 0
	v_cndmask_b32_e64 v5, 0, 1, s[4:5]
	v_lshlrev_b32_e32 v5, 3, v5
	v_add_lshl_u32 v1, v5, v1, 2
	ds_bpermute_b32 v1, v1, v4
	v_cmp_gt_u32_e64 s[4:5], s8, v3
	s_waitcnt lgkmcnt(0)
	v_add_f32_e32 v1, v4, v1
	v_cndmask_b32_e64 v1, v4, v1, s[4:5]
	v_cndmask_b32_e32 v2, v2, v1, vcc
.LBB16_24:
	s_or_b64 exec, exec, s[6:7]
	v_cmp_eq_u32_e32 vcc, 0, v0
	s_and_saveexec_b64 s[4:5], vcc
	s_cbranch_execz .LBB16_26
; %bb.25:
	v_cvt_f32_i32_e32 v1, s3
	s_load_dword s8, s[0:1], 0x28
	v_div_scale_f32 v3, s[6:7], v1, v1, v2
	v_rcp_f32_e32 v4, v3
	v_div_scale_f32 v5, vcc, v2, v1, v2
	s_mov_b32 s6, 0x800000
	v_fma_f32 v6, -v3, v4, 1.0
	v_fmac_f32_e32 v4, v6, v4
	v_mul_f32_e32 v6, v5, v4
	v_fma_f32 v7, -v3, v6, v5
	v_fmac_f32_e32 v6, v7, v4
	v_fma_f32 v3, -v3, v6, v5
	v_div_fmas_f32 v3, v3, v4, v6
	v_div_fixup_f32 v1, v3, v1, v2
	s_waitcnt lgkmcnt(0)
	v_add_f32_e32 v1, s8, v1
	v_mul_f32_e32 v2, 0x4b800000, v1
	v_cmp_gt_f32_e32 vcc, s6, v1
	s_nop 1
	v_cndmask_b32_e32 v1, v1, v2, vcc
	v_rsq_f32_e32 v1, v1
	s_nop 0
	v_mul_f32_e32 v2, 0x45800000, v1
	v_cndmask_b32_e32 v1, v1, v2, vcc
	v_mov_b32_e32 v2, 0
	ds_write_b32 v2, v1 offset:64
.LBB16_26:
	s_or_b64 exec, exec, s[4:5]
	s_ashr_i32 s4, s3, 31
	s_lshr_b32 s4, s4, 29
	s_add_i32 s4, s3, s4
	s_ashr_i32 s23, s4, 3
	v_cmp_gt_i32_e32 vcc, s23, v0
	s_waitcnt lgkmcnt(0)
	s_barrier
	s_and_saveexec_b64 s[4:5], vcc
	s_cbranch_execz .LBB16_29
; %bb.27:
	s_load_dwordx4 s[16:19], s[0:1], 0x18
	s_load_dwordx2 s[20:21], s[0:1], 0x0
	s_mul_i32 s2, s2, s3
	v_mov_b32_e32 v3, 0
	ds_read_b32 v1, v3 offset:64
	s_waitcnt lgkmcnt(0)
	s_load_dword s3, s[18:19], 0x0
	s_lshl_b32 s24, s22, 3
	v_lshlrev_b32_e32 v2, 4, v0
	v_lshl_add_u32 v4, v0, 3, s2
	s_lshl_b32 s25, s22, 4
	s_waitcnt lgkmcnt(0)
	v_div_scale_f32 v5, s[0:1], s3, s3, 1.0
	v_rcp_f32_e32 v6, v5
	v_div_scale_f32 v7, vcc, 1.0, s3, 1.0
	s_mov_b64 s[18:19], 0
	v_fma_f32 v8, -v5, v6, 1.0
	v_fmac_f32_e32 v6, v8, v6
	v_mul_f32_e32 v8, v7, v6
	v_fma_f32 v9, -v5, v8, v7
	v_fmac_f32_e32 v8, v9, v6
	v_fma_f32 v5, -v5, v8, v7
	v_div_fmas_f32 v5, v5, v6, v8
	v_div_fixup_f32 v5, v5, s3, 1.0
	s_mov_b32 s26, 0x7f800000
	s_mov_b32 s27, 0x43700000
	v_mov_b32_e32 v6, 0xc3700000
.LBB16_28:                              ; =>This Inner Loop Header: Depth=1
	v_lshl_add_u64 v[16:17], s[14:15], 0, v[2:3]
	v_lshl_add_u64 v[18:19], s[16:17], 0, v[2:3]
	global_load_dwordx4 v[8:11], v[16:17], off
	global_load_dwordx4 v[12:15], v[18:19], off
	s_add_u32 s16, s16, s25
	s_addc_u32 s17, s17, 0
	v_add_u32_e32 v0, s22, v0
	s_add_u32 s14, s14, s25
	v_cmp_le_i32_e32 vcc, s23, v0
	s_addc_u32 s15, s15, 0
	v_mov_b32_e32 v7, 0
	s_or_b64 s[18:19], vcc, s[18:19]
	v_mov_b32_e32 v20, 0
	v_mov_b32_e32 v22, 0
	;; [unrolled: 1-line block ×7, first 2 shown]
	v_add_u32_e32 v21, 1, v4
	v_add_u32_e32 v23, 2, v4
	;; [unrolled: 1-line block ×7, first 2 shown]
	s_waitcnt vmcnt(1)
	v_fma_mixlo_f16 v16, v1, v8, 0 op_sel_hi:[0,1,0]
	v_fma_mixlo_f16 v8, v1, v8, 0 op_sel:[0,1,0] op_sel_hi:[0,1,0]
	v_fma_mixlo_f16 v17, v1, v9, 0 op_sel_hi:[0,1,0]
	v_fma_mixlo_f16 v9, v1, v9, 0 op_sel:[0,1,0] op_sel_hi:[0,1,0]
	;; [unrolled: 2-line block ×4, first 2 shown]
	s_waitcnt vmcnt(0)
	v_mul_f16_e32 v16, v12, v16
	v_mul_f16_sdwa v8, v12, v8 dst_sel:DWORD dst_unused:UNUSED_PAD src0_sel:WORD_1 src1_sel:DWORD
	v_mul_f16_e32 v12, v13, v17
	v_mul_f16_sdwa v9, v13, v9 dst_sel:DWORD dst_unused:UNUSED_PAD src0_sel:WORD_1 src1_sel:DWORD
	;; [unrolled: 2-line block ×4, first 2 shown]
	v_cvt_f32_f16_e32 v15, v16
	v_cvt_f32_f16_e32 v8, v8
	;; [unrolled: 1-line block ×8, first 2 shown]
	v_mul_f32_e32 v15, v5, v15
	v_mul_f32_e32 v8, v5, v8
	v_min_f32_e32 v15, 0x43600000, v15
	v_mul_f32_e32 v12, v5, v12
	v_min_f32_e32 v8, 0x43600000, v8
	v_max_f32_e32 v15, 0xc3600000, v15
	v_mul_f32_e32 v9, v5, v9
	v_min_f32_e32 v12, 0x43600000, v12
	v_max_f32_e32 v8, 0xc3600000, v8
	v_med3_f32 v16, v15, s27, v6
	v_cmp_nlg_f32_e64 s[12:13], |v15|, s26
	v_mul_f32_e32 v13, v5, v13
	v_mul_f32_e32 v10, v5, v10
	;; [unrolled: 1-line block ×4, first 2 shown]
	v_min_f32_e32 v9, 0x43600000, v9
	v_max_f32_e32 v12, 0xc3600000, v12
	v_med3_f32 v17, v8, s27, v6
	v_cmp_nlg_f32_e64 vcc, |v8|, s26
	v_cndmask_b32_e64 v15, v16, v15, s[12:13]
	v_min_f32_e32 v13, 0x43600000, v13
	v_min_f32_e32 v10, 0x43600000, v10
	;; [unrolled: 1-line block ×4, first 2 shown]
	v_max_f32_e32 v9, 0xc3600000, v9
	v_med3_f32 v18, v12, s27, v6
	v_cmp_nlg_f32_e64 s[0:1], |v12|, s26
	v_cndmask_b32_e32 v8, v17, v8, vcc
	v_cvt_pk_fp8_f32 v7, v15, v15
	v_max_f32_e32 v13, 0xc3600000, v13
	v_max_f32_e32 v10, 0xc3600000, v10
	;; [unrolled: 1-line block ×4, first 2 shown]
	v_med3_f32 v19, v9, s27, v6
	v_cmp_nlg_f32_e64 s[2:3], |v9|, s26
	v_cndmask_b32_e64 v12, v18, v12, s[0:1]
	v_cvt_pk_fp8_f32 v20, v8, v8
	v_med3_f32 v34, v13, s27, v6
	v_cmp_nlg_f32_e64 s[4:5], |v13|, s26
	v_med3_f32 v35, v10, s27, v6
	v_cmp_nlg_f32_e64 s[6:7], |v10|, s26
	;; [unrolled: 2-line block ×4, first 2 shown]
	v_cndmask_b32_e64 v9, v19, v9, s[2:3]
	v_cvt_pk_fp8_f32 v22, v12, v12
	v_cndmask_b32_e64 v13, v34, v13, s[4:5]
	v_cndmask_b32_e64 v10, v35, v10, s[6:7]
	;; [unrolled: 1-line block ×4, first 2 shown]
	v_cvt_pk_fp8_f32 v24, v9, v9
	v_cvt_pk_fp8_f32 v26, v13, v13
	;; [unrolled: 1-line block ×5, first 2 shown]
	global_store_byte v4, v7, s[20:21]
	global_store_byte v21, v20, s[20:21]
	;; [unrolled: 1-line block ×8, first 2 shown]
	v_add_u32_e32 v4, s24, v4
	s_andn2_b64 exec, exec, s[18:19]
	s_cbranch_execnz .LBB16_28
.LBB16_29:
	s_endpgm
	.section	.rodata,"a",@progbits
	.p2align	6, 0x0
	.amdhsa_kernel _ZN4vllm32rms_norm_static_fp8_quant_kernelIN3c104HalfENS1_15Float8_e4m3fnuzELi8EEEvPT0_PKT_iS8_PKffii
		.amdhsa_group_segment_fixed_size 68
		.amdhsa_private_segment_fixed_size 0
		.amdhsa_kernarg_size 312
		.amdhsa_user_sgpr_count 2
		.amdhsa_user_sgpr_dispatch_ptr 0
		.amdhsa_user_sgpr_queue_ptr 0
		.amdhsa_user_sgpr_kernarg_segment_ptr 1
		.amdhsa_user_sgpr_dispatch_id 0
		.amdhsa_user_sgpr_kernarg_preload_length 0
		.amdhsa_user_sgpr_kernarg_preload_offset 0
		.amdhsa_user_sgpr_private_segment_size 0
		.amdhsa_uses_dynamic_stack 0
		.amdhsa_enable_private_segment 0
		.amdhsa_system_sgpr_workgroup_id_x 1
		.amdhsa_system_sgpr_workgroup_id_y 0
		.amdhsa_system_sgpr_workgroup_id_z 0
		.amdhsa_system_sgpr_workgroup_info 0
		.amdhsa_system_vgpr_workitem_id 0
		.amdhsa_next_free_vgpr 38
		.amdhsa_next_free_sgpr 28
		.amdhsa_accum_offset 40
		.amdhsa_reserve_vcc 1
		.amdhsa_float_round_mode_32 0
		.amdhsa_float_round_mode_16_64 0
		.amdhsa_float_denorm_mode_32 3
		.amdhsa_float_denorm_mode_16_64 3
		.amdhsa_dx10_clamp 1
		.amdhsa_ieee_mode 1
		.amdhsa_fp16_overflow 0
		.amdhsa_tg_split 0
		.amdhsa_exception_fp_ieee_invalid_op 0
		.amdhsa_exception_fp_denorm_src 0
		.amdhsa_exception_fp_ieee_div_zero 0
		.amdhsa_exception_fp_ieee_overflow 0
		.amdhsa_exception_fp_ieee_underflow 0
		.amdhsa_exception_fp_ieee_inexact 0
		.amdhsa_exception_int_div_zero 0
	.end_amdhsa_kernel
	.section	.text._ZN4vllm32rms_norm_static_fp8_quant_kernelIN3c104HalfENS1_15Float8_e4m3fnuzELi8EEEvPT0_PKT_iS8_PKffii,"axG",@progbits,_ZN4vllm32rms_norm_static_fp8_quant_kernelIN3c104HalfENS1_15Float8_e4m3fnuzELi8EEEvPT0_PKT_iS8_PKffii,comdat
.Lfunc_end16:
	.size	_ZN4vllm32rms_norm_static_fp8_quant_kernelIN3c104HalfENS1_15Float8_e4m3fnuzELi8EEEvPT0_PKT_iS8_PKffii, .Lfunc_end16-_ZN4vllm32rms_norm_static_fp8_quant_kernelIN3c104HalfENS1_15Float8_e4m3fnuzELi8EEEvPT0_PKT_iS8_PKffii
                                        ; -- End function
	.section	.AMDGPU.csdata,"",@progbits
; Kernel info:
; codeLenInByte = 2604
; NumSgprs: 34
; NumVgprs: 38
; NumAgprs: 0
; TotalNumVgprs: 38
; ScratchSize: 0
; MemoryBound: 0
; FloatMode: 240
; IeeeMode: 1
; LDSByteSize: 68 bytes/workgroup (compile time only)
; SGPRBlocks: 4
; VGPRBlocks: 4
; NumSGPRsForWavesPerEU: 34
; NumVGPRsForWavesPerEU: 38
; AccumOffset: 40
; Occupancy: 8
; WaveLimiterHint : 0
; COMPUTE_PGM_RSRC2:SCRATCH_EN: 0
; COMPUTE_PGM_RSRC2:USER_SGPR: 2
; COMPUTE_PGM_RSRC2:TRAP_HANDLER: 0
; COMPUTE_PGM_RSRC2:TGID_X_EN: 1
; COMPUTE_PGM_RSRC2:TGID_Y_EN: 0
; COMPUTE_PGM_RSRC2:TGID_Z_EN: 0
; COMPUTE_PGM_RSRC2:TIDIG_COMP_CNT: 0
; COMPUTE_PGM_RSRC3_GFX90A:ACCUM_OFFSET: 9
; COMPUTE_PGM_RSRC3_GFX90A:TG_SPLIT: 0
	.section	.text._ZN4vllm32rms_norm_static_fp8_quant_kernelIN3c104HalfENS1_15Float8_e4m3fnuzELi4EEEvPT0_PKT_iS8_PKffii,"axG",@progbits,_ZN4vllm32rms_norm_static_fp8_quant_kernelIN3c104HalfENS1_15Float8_e4m3fnuzELi4EEEvPT0_PKT_iS8_PKffii,comdat
	.protected	_ZN4vllm32rms_norm_static_fp8_quant_kernelIN3c104HalfENS1_15Float8_e4m3fnuzELi4EEEvPT0_PKT_iS8_PKffii ; -- Begin function _ZN4vllm32rms_norm_static_fp8_quant_kernelIN3c104HalfENS1_15Float8_e4m3fnuzELi4EEEvPT0_PKT_iS8_PKffii
	.globl	_ZN4vllm32rms_norm_static_fp8_quant_kernelIN3c104HalfENS1_15Float8_e4m3fnuzELi4EEEvPT0_PKT_iS8_PKffii
	.p2align	8
	.type	_ZN4vllm32rms_norm_static_fp8_quant_kernelIN3c104HalfENS1_15Float8_e4m3fnuzELi4EEEvPT0_PKT_iS8_PKffii,@function
_ZN4vllm32rms_norm_static_fp8_quant_kernelIN3c104HalfENS1_15Float8_e4m3fnuzELi4EEEvPT0_PKT_iS8_PKffii: ; @_ZN4vllm32rms_norm_static_fp8_quant_kernelIN3c104HalfENS1_15Float8_e4m3fnuzELi4EEEvPT0_PKT_iS8_PKffii
; %bb.0:
	s_load_dword s6, s[0:1], 0x10
	s_load_dwordx2 s[4:5], s[0:1], 0x8
	s_load_dword s3, s[0:1], 0x30
	s_load_dword s12, s[0:1], 0x44
	s_mov_b32 s11, 0
	s_waitcnt lgkmcnt(0)
	s_mul_i32 s10, s2, s6
	s_lshl_b64 s[8:9], s[10:11], 1
	s_add_u32 s6, s4, s8
	s_addc_u32 s7, s5, s9
	s_and_b32 s18, s12, 0xffff
	s_and_b32 s10, s6, 7
	s_cmp_lg_u64 s[10:11], 0
	s_cselect_b64 s[10:11], -1, 0
	s_and_b32 s12, s3, 3
	s_cmp_lg_u32 s12, 0
	s_cselect_b64 s[12:13], -1, 0
	s_or_b64 s[10:11], s[10:11], s[12:13]
	s_and_b64 vcc, exec, s[10:11]
	s_cbranch_vccz .LBB17_14
; %bb.1:
	s_sub_i32 s10, 0, s6
	s_bfe_u32 s10, s10, 0x20001
	s_min_i32 s10, s10, s3
	v_cmp_gt_i32_e32 vcc, s10, v0
	v_mov_b32_e32 v3, 0
	s_and_saveexec_b64 s[12:13], vcc
	s_cbranch_execz .LBB17_5
; %bb.2:
	s_add_u32 s16, s4, s8
	v_lshlrev_b32_e32 v2, 1, v0
	v_mov_b32_e32 v3, 0
	s_addc_u32 s17, s5, s9
	s_mov_b32 s15, 0
	v_lshl_add_u64 v[4:5], s[16:17], 0, v[2:3]
	s_lshl_b32 s14, s18, 1
	s_mov_b64 s[16:17], 0
	v_mov_b32_e32 v1, v0
.LBB17_3:                               ; =>This Inner Loop Header: Depth=1
	global_load_ushort v2, v[4:5], off
	v_add_u32_e32 v1, s18, v1
	v_cmp_le_i32_e32 vcc, s10, v1
	v_lshl_add_u64 v[4:5], v[4:5], 0, s[14:15]
	s_or_b64 s[16:17], vcc, s[16:17]
	s_waitcnt vmcnt(0)
	v_fma_mix_f32 v3, v2, v2, v3 op_sel_hi:[1,1,0]
	s_andn2_b64 exec, exec, s[16:17]
	s_cbranch_execnz .LBB17_3
; %bb.4:
	s_or_b64 exec, exec, s[16:17]
.LBB17_5:
	s_or_b64 exec, exec, s[12:13]
	s_sub_i32 s19, s3, s10
	s_ashr_i32 s12, s19, 31
	s_lshr_b32 s12, s12, 30
	s_add_i32 s12, s19, s12
	s_ashr_i32 s20, s12, 2
	s_ashr_i32 s11, s10, 31
	v_cmp_gt_i32_e32 vcc, s20, v0
	s_and_saveexec_b64 s[12:13], vcc
	s_cbranch_execz .LBB17_9
; %bb.6:
	s_lshl_b64 s[16:17], s[10:11], 1
	s_add_u32 s14, s4, s8
	s_addc_u32 s21, s5, s9
	s_add_u32 s16, s14, s16
	v_lshlrev_b32_e32 v4, 3, v0
	v_mov_b32_e32 v5, 0
	s_addc_u32 s17, s21, s17
	v_lshl_add_u64 v[4:5], s[16:17], 0, v[4:5]
	s_mov_b32 s15, 0
	v_lshl_add_u64 v[4:5], v[4:5], 0, 4
	s_lshl_b32 s14, s18, 3
	s_mov_b64 s[16:17], 0
	v_mov_b32_e32 v1, v0
.LBB17_7:                               ; =>This Inner Loop Header: Depth=1
	global_load_dwordx2 v[6:7], v[4:5], off offset:-4
	v_add_u32_e32 v1, s18, v1
	v_cmp_le_i32_e32 vcc, s20, v1
	v_lshl_add_u64 v[4:5], v[4:5], 0, s[14:15]
	s_or_b64 s[16:17], vcc, s[16:17]
	s_waitcnt vmcnt(0)
	v_fma_mix_f32 v2, v6, v6, v3 op_sel_hi:[1,1,0]
	s_nop 0
	v_fma_mix_f32 v2, v6, v6, v2 op_sel:[1,1,0] op_sel_hi:[1,1,0]
	s_nop 0
	v_fma_mix_f32 v2, v7, v7, v2 op_sel_hi:[1,1,0]
	s_nop 0
	v_fma_mix_f32 v3, v7, v7, v2 op_sel:[1,1,0] op_sel_hi:[1,1,0]
	s_andn2_b64 exec, exec, s[16:17]
	s_cbranch_execnz .LBB17_7
; %bb.8:
	s_or_b64 exec, exec, s[16:17]
.LBB17_9:
	s_or_b64 exec, exec, s[12:13]
	v_lshl_add_u32 v4, s20, 2, v0
	v_cmp_gt_i32_e32 vcc, s19, v4
	s_and_saveexec_b64 s[12:13], vcc
	s_cbranch_execz .LBB17_13
; %bb.10:
	s_lshl_b64 s[10:11], s[10:11], 1
	s_add_u32 s14, s4, s8
	s_addc_u32 s15, s5, s9
	s_add_u32 s10, s14, s10
	v_ashrrev_i32_e32 v5, 31, v4
	s_addc_u32 s11, s15, s11
	v_lshl_add_u64 v[6:7], v[4:5], 1, s[10:11]
	s_lshl_b32 s10, s18, 1
	s_mov_b32 s11, 0
	s_mov_b64 s[14:15], 0
.LBB17_11:                              ; =>This Inner Loop Header: Depth=1
	global_load_ushort v1, v[6:7], off
	v_add_u32_e32 v4, s18, v4
	v_cmp_le_i32_e32 vcc, s19, v4
	v_lshl_add_u64 v[6:7], v[6:7], 0, s[10:11]
	s_or_b64 s[14:15], vcc, s[14:15]
	s_waitcnt vmcnt(0)
	v_fma_mix_f32 v3, v1, v1, v3 op_sel_hi:[1,1,0]
	s_andn2_b64 exec, exec, s[14:15]
	s_cbranch_execnz .LBB17_11
; %bb.12:
	s_or_b64 exec, exec, s[14:15]
.LBB17_13:
	s_or_b64 exec, exec, s[12:13]
	s_branch .LBB17_20
.LBB17_14:
                                        ; implicit-def: $vgpr3
	s_cbranch_execz .LBB17_20
; %bb.15:
	s_ashr_i32 s14, s3, 2
	v_cmp_gt_i32_e32 vcc, s14, v0
	v_mov_b32_e32 v3, 0
	s_and_saveexec_b64 s[10:11], vcc
	s_cbranch_execz .LBB17_19
; %bb.16:
	s_add_u32 s4, s4, s8
	v_lshlrev_b32_e32 v2, 3, v0
	v_mov_b32_e32 v3, 0
	s_addc_u32 s5, s5, s9
	v_lshl_add_u64 v[4:5], s[4:5], 0, v[2:3]
	s_mov_b32 s13, 0
	v_lshl_add_u64 v[4:5], v[4:5], 0, 4
	s_lshl_b32 s12, s18, 3
	s_mov_b64 s[4:5], 0
	v_mov_b32_e32 v1, v0
.LBB17_17:                              ; =>This Inner Loop Header: Depth=1
	global_load_dwordx2 v[6:7], v[4:5], off offset:-4
	v_add_u32_e32 v1, s18, v1
	v_cmp_le_i32_e32 vcc, s14, v1
	v_lshl_add_u64 v[4:5], v[4:5], 0, s[12:13]
	s_or_b64 s[4:5], vcc, s[4:5]
	s_waitcnt vmcnt(0)
	v_fma_mix_f32 v2, v6, v6, v3 op_sel_hi:[1,1,0]
	s_nop 0
	v_fma_mix_f32 v2, v6, v6, v2 op_sel:[1,1,0] op_sel_hi:[1,1,0]
	s_nop 0
	v_fma_mix_f32 v2, v7, v7, v2 op_sel_hi:[1,1,0]
	s_nop 0
	v_fma_mix_f32 v3, v7, v7, v2 op_sel:[1,1,0] op_sel_hi:[1,1,0]
	s_andn2_b64 exec, exec, s[4:5]
	s_cbranch_execnz .LBB17_17
; %bb.18:
	s_or_b64 exec, exec, s[4:5]
.LBB17_19:
	s_or_b64 exec, exec, s[10:11]
.LBB17_20:
	v_mbcnt_lo_u32_b32 v1, -1, 0
	v_mbcnt_hi_u32_b32 v1, -1, v1
	v_and_b32_e32 v2, 63, v1
	v_cmp_ne_u32_e32 vcc, 63, v2
	v_and_b32_e32 v5, 0x3c0, v0
	v_sub_u32_e64 v5, s18, v5 clamp
	v_addc_co_u32_e32 v4, vcc, 0, v1, vcc
	v_lshlrev_b32_e32 v4, 2, v4
	ds_bpermute_b32 v4, v4, v3
	v_add_u32_e32 v6, 1, v1
	v_cmp_lt_u32_e32 vcc, v6, v5
	v_add_u32_e32 v6, 2, v1
	s_waitcnt lgkmcnt(0)
	v_add_f32_e32 v4, v3, v4
	v_cndmask_b32_e32 v3, v3, v4, vcc
	v_cmp_gt_u32_e32 vcc, 62, v2
	s_nop 1
	v_cndmask_b32_e64 v4, 0, 1, vcc
	v_lshlrev_b32_e32 v4, 1, v4
	v_add_lshl_u32 v4, v4, v1, 2
	ds_bpermute_b32 v4, v4, v3
	v_cmp_lt_u32_e32 vcc, v6, v5
	v_add_u32_e32 v6, 4, v1
	s_waitcnt lgkmcnt(0)
	v_add_f32_e32 v4, v3, v4
	v_cndmask_b32_e32 v3, v3, v4, vcc
	v_cmp_gt_u32_e32 vcc, 60, v2
	s_nop 1
	v_cndmask_b32_e64 v4, 0, 1, vcc
	v_lshlrev_b32_e32 v4, 2, v4
	v_add_lshl_u32 v4, v4, v1, 2
	ds_bpermute_b32 v4, v4, v3
	;; [unrolled: 11-line block ×4, first 2 shown]
	v_cmp_lt_u32_e32 vcc, v6, v5
	s_waitcnt lgkmcnt(0)
	v_add_f32_e32 v4, v3, v4
	v_cndmask_b32_e32 v3, v3, v4, vcc
	v_cmp_gt_u32_e32 vcc, 32, v2
	v_add_u32_e32 v4, 32, v1
	s_nop 0
	v_cndmask_b32_e64 v2, 0, 1, vcc
	v_lshlrev_b32_e32 v2, 5, v2
	v_add_lshl_u32 v2, v2, v1, 2
	ds_bpermute_b32 v2, v2, v3
	v_cmp_lt_u32_e32 vcc, v4, v5
	s_waitcnt lgkmcnt(0)
	v_add_f32_e32 v2, v3, v2
	v_cndmask_b32_e32 v2, v3, v2, vcc
	v_cmp_eq_u32_e32 vcc, 0, v1
	s_and_saveexec_b64 s[4:5], vcc
	s_cbranch_execz .LBB17_22
; %bb.21:
	v_lshrrev_b32_e32 v3, 4, v0
	v_and_b32_e32 v3, 60, v3
	ds_write_b32 v3, v2
.LBB17_22:
	s_or_b64 exec, exec, s[4:5]
	v_cmp_gt_u32_e32 vcc, 16, v0
	s_waitcnt lgkmcnt(0)
	s_barrier
	s_and_saveexec_b64 s[8:9], vcc
	s_cbranch_execz .LBB17_24
; %bb.23:
	v_lshlrev_b32_e32 v2, 2, v1
	ds_read_b32 v2, v2
	v_and_b32_e32 v3, 15, v1
	v_cmp_ne_u32_e32 vcc, 15, v3
	s_add_i32 s4, s18, 63
	s_lshr_b32 s10, s4, 6
	v_addc_co_u32_e32 v4, vcc, 0, v1, vcc
	v_lshlrev_b32_e32 v4, 2, v4
	s_waitcnt lgkmcnt(0)
	ds_bpermute_b32 v4, v4, v2
	v_add_u32_e32 v5, 1, v3
	v_cmp_gt_u32_e64 s[4:5], 14, v3
	v_cmp_gt_u32_e32 vcc, s10, v5
	v_add_u32_e32 v6, 2, v3
	v_cndmask_b32_e64 v5, 0, 1, s[4:5]
	s_waitcnt lgkmcnt(0)
	v_add_f32_e32 v4, v2, v4
	v_lshlrev_b32_e32 v5, 1, v5
	v_cndmask_b32_e32 v4, v2, v4, vcc
	v_add_lshl_u32 v5, v5, v1, 2
	ds_bpermute_b32 v5, v5, v4
	v_cmp_gt_u32_e64 s[4:5], s10, v6
	v_add_u32_e32 v6, 4, v3
	s_waitcnt lgkmcnt(0)
	v_add_f32_e32 v5, v4, v5
	v_cndmask_b32_e64 v4, v4, v5, s[4:5]
	v_cmp_gt_u32_e64 s[4:5], 12, v3
	s_nop 1
	v_cndmask_b32_e64 v5, 0, 1, s[4:5]
	v_lshlrev_b32_e32 v5, 2, v5
	v_add_lshl_u32 v5, v5, v1, 2
	ds_bpermute_b32 v5, v5, v4
	v_cmp_gt_u32_e64 s[4:5], s10, v6
	s_waitcnt lgkmcnt(0)
	v_add_f32_e32 v5, v4, v5
	v_cndmask_b32_e64 v4, v4, v5, s[4:5]
	v_cmp_gt_u32_e64 s[4:5], 8, v3
	v_add_u32_e32 v3, 8, v3
	s_nop 0
	v_cndmask_b32_e64 v5, 0, 1, s[4:5]
	v_lshlrev_b32_e32 v5, 3, v5
	v_add_lshl_u32 v1, v5, v1, 2
	ds_bpermute_b32 v1, v1, v4
	v_cmp_gt_u32_e64 s[4:5], s10, v3
	s_waitcnt lgkmcnt(0)
	v_add_f32_e32 v1, v4, v1
	v_cndmask_b32_e64 v1, v4, v1, s[4:5]
	v_cndmask_b32_e32 v2, v2, v1, vcc
.LBB17_24:
	s_or_b64 exec, exec, s[8:9]
	v_cmp_eq_u32_e32 vcc, 0, v0
	s_and_saveexec_b64 s[4:5], vcc
	s_cbranch_execz .LBB17_26
; %bb.25:
	v_cvt_f32_i32_e32 v1, s3
	s_load_dword s10, s[0:1], 0x28
	v_div_scale_f32 v3, s[8:9], v1, v1, v2
	v_rcp_f32_e32 v4, v3
	v_div_scale_f32 v5, vcc, v2, v1, v2
	s_mov_b32 s8, 0x800000
	v_fma_f32 v6, -v3, v4, 1.0
	v_fmac_f32_e32 v4, v6, v4
	v_mul_f32_e32 v6, v5, v4
	v_fma_f32 v7, -v3, v6, v5
	v_fmac_f32_e32 v6, v7, v4
	v_fma_f32 v3, -v3, v6, v5
	v_div_fmas_f32 v3, v3, v4, v6
	v_div_fixup_f32 v1, v3, v1, v2
	s_waitcnt lgkmcnt(0)
	v_add_f32_e32 v1, s10, v1
	v_mul_f32_e32 v2, 0x4b800000, v1
	v_cmp_gt_f32_e32 vcc, s8, v1
	s_nop 1
	v_cndmask_b32_e32 v1, v1, v2, vcc
	v_rsq_f32_e32 v1, v1
	s_nop 0
	v_mul_f32_e32 v2, 0x45800000, v1
	v_cndmask_b32_e32 v1, v1, v2, vcc
	v_mov_b32_e32 v2, 0
	ds_write_b32 v2, v1 offset:64
.LBB17_26:
	s_or_b64 exec, exec, s[4:5]
	s_ashr_i32 s4, s3, 31
	s_lshr_b32 s4, s4, 30
	s_add_i32 s4, s3, s4
	s_ashr_i32 s14, s4, 2
	v_cmp_gt_i32_e32 vcc, s14, v0
	s_waitcnt lgkmcnt(0)
	s_barrier
	s_and_saveexec_b64 s[4:5], vcc
	s_cbranch_execz .LBB17_29
; %bb.27:
	s_load_dwordx4 s[8:11], s[0:1], 0x18
	s_load_dwordx2 s[12:13], s[0:1], 0x0
	s_mul_i32 s2, s2, s3
	v_mov_b32_e32 v3, 0
	ds_read_b32 v1, v3 offset:64
	s_waitcnt lgkmcnt(0)
	s_load_dword s3, s[10:11], 0x0
	s_lshl_b32 s15, s18, 2
	v_lshlrev_b32_e32 v2, 3, v0
	v_lshl_add_u32 v4, v0, 2, s2
	s_lshl_b32 s16, s18, 3
	s_waitcnt lgkmcnt(0)
	v_div_scale_f32 v5, s[0:1], s3, s3, 1.0
	v_rcp_f32_e32 v6, v5
	v_div_scale_f32 v7, vcc, 1.0, s3, 1.0
	s_mov_b64 s[10:11], 0
	v_fma_f32 v8, -v5, v6, 1.0
	v_fmac_f32_e32 v6, v8, v6
	v_mul_f32_e32 v8, v7, v6
	v_fma_f32 v9, -v5, v8, v7
	v_fmac_f32_e32 v8, v9, v6
	v_fma_f32 v5, -v5, v8, v7
	v_div_fmas_f32 v5, v5, v6, v8
	v_div_fixup_f32 v5, v5, s3, 1.0
	s_mov_b32 s17, 0x7f800000
	s_mov_b32 s19, 0x43700000
	v_mov_b32_e32 v6, 0xc3700000
.LBB17_28:                              ; =>This Inner Loop Header: Depth=1
	v_lshl_add_u64 v[8:9], s[6:7], 0, v[2:3]
	v_lshl_add_u64 v[10:11], s[8:9], 0, v[2:3]
	global_load_dwordx2 v[12:13], v[8:9], off
	global_load_dwordx2 v[14:15], v[10:11], off
	s_add_u32 s8, s8, s16
	s_addc_u32 s9, s9, 0
	v_add_u32_e32 v0, s18, v0
	s_add_u32 s6, s6, s16
	v_cmp_le_i32_e32 vcc, s14, v0
	s_addc_u32 s7, s7, 0
	v_mov_b32_e32 v7, 0
	s_or_b64 s[10:11], vcc, s[10:11]
	v_mov_b32_e32 v8, 0
	v_mov_b32_e32 v10, 0
	;; [unrolled: 1-line block ×3, first 2 shown]
	v_add_u32_e32 v9, 1, v4
	v_add_u32_e32 v11, 2, v4
	;; [unrolled: 1-line block ×3, first 2 shown]
	s_waitcnt vmcnt(1)
	v_fma_mixlo_f16 v18, v1, v12, 0 op_sel_hi:[0,1,0]
	v_fma_mixlo_f16 v12, v1, v12, 0 op_sel:[0,1,0] op_sel_hi:[0,1,0]
	v_fma_mixlo_f16 v19, v1, v13, 0 op_sel_hi:[0,1,0]
	v_fma_mixlo_f16 v13, v1, v13, 0 op_sel:[0,1,0] op_sel_hi:[0,1,0]
	s_waitcnt vmcnt(0)
	v_mul_f16_e32 v18, v14, v18
	v_mul_f16_sdwa v12, v14, v12 dst_sel:DWORD dst_unused:UNUSED_PAD src0_sel:WORD_1 src1_sel:DWORD
	v_mul_f16_e32 v14, v15, v19
	v_mul_f16_sdwa v13, v15, v13 dst_sel:DWORD dst_unused:UNUSED_PAD src0_sel:WORD_1 src1_sel:DWORD
	v_cvt_f32_f16_e32 v15, v18
	v_cvt_f32_f16_e32 v12, v12
	;; [unrolled: 1-line block ×4, first 2 shown]
	v_mul_f32_e32 v15, v5, v15
	v_mul_f32_e32 v12, v5, v12
	v_min_f32_e32 v15, 0x43600000, v15
	v_mul_f32_e32 v14, v5, v14
	v_min_f32_e32 v12, 0x43600000, v12
	v_max_f32_e32 v15, 0xc3600000, v15
	v_mul_f32_e32 v13, v5, v13
	v_min_f32_e32 v14, 0x43600000, v14
	v_max_f32_e32 v12, 0xc3600000, v12
	v_med3_f32 v18, v15, s19, v6
	v_cmp_nlg_f32_e64 s[4:5], |v15|, s17
	v_min_f32_e32 v13, 0x43600000, v13
	v_max_f32_e32 v14, 0xc3600000, v14
	v_med3_f32 v19, v12, s19, v6
	v_cmp_nlg_f32_e64 vcc, |v12|, s17
	v_cndmask_b32_e64 v15, v18, v15, s[4:5]
	v_max_f32_e32 v13, 0xc3600000, v13
	v_med3_f32 v20, v14, s19, v6
	v_cmp_nlg_f32_e64 s[0:1], |v14|, s17
	v_cndmask_b32_e32 v12, v19, v12, vcc
	v_cvt_pk_fp8_f32 v7, v15, v15
	v_med3_f32 v21, v13, s19, v6
	v_cmp_nlg_f32_e64 s[2:3], |v13|, s17
	v_cndmask_b32_e64 v14, v20, v14, s[0:1]
	v_cvt_pk_fp8_f32 v8, v12, v12
	v_cndmask_b32_e64 v13, v21, v13, s[2:3]
	v_cvt_pk_fp8_f32 v10, v14, v14
	v_cvt_pk_fp8_f32 v16, v13, v13
	global_store_byte v4, v7, s[12:13]
	global_store_byte v9, v8, s[12:13]
	;; [unrolled: 1-line block ×4, first 2 shown]
	v_add_u32_e32 v4, s15, v4
	s_andn2_b64 exec, exec, s[10:11]
	s_cbranch_execnz .LBB17_28
.LBB17_29:
	s_endpgm
	.section	.rodata,"a",@progbits
	.p2align	6, 0x0
	.amdhsa_kernel _ZN4vllm32rms_norm_static_fp8_quant_kernelIN3c104HalfENS1_15Float8_e4m3fnuzELi4EEEvPT0_PKT_iS8_PKffii
		.amdhsa_group_segment_fixed_size 68
		.amdhsa_private_segment_fixed_size 0
		.amdhsa_kernarg_size 312
		.amdhsa_user_sgpr_count 2
		.amdhsa_user_sgpr_dispatch_ptr 0
		.amdhsa_user_sgpr_queue_ptr 0
		.amdhsa_user_sgpr_kernarg_segment_ptr 1
		.amdhsa_user_sgpr_dispatch_id 0
		.amdhsa_user_sgpr_kernarg_preload_length 0
		.amdhsa_user_sgpr_kernarg_preload_offset 0
		.amdhsa_user_sgpr_private_segment_size 0
		.amdhsa_uses_dynamic_stack 0
		.amdhsa_enable_private_segment 0
		.amdhsa_system_sgpr_workgroup_id_x 1
		.amdhsa_system_sgpr_workgroup_id_y 0
		.amdhsa_system_sgpr_workgroup_id_z 0
		.amdhsa_system_sgpr_workgroup_info 0
		.amdhsa_system_vgpr_workitem_id 0
		.amdhsa_next_free_vgpr 22
		.amdhsa_next_free_sgpr 22
		.amdhsa_accum_offset 24
		.amdhsa_reserve_vcc 1
		.amdhsa_float_round_mode_32 0
		.amdhsa_float_round_mode_16_64 0
		.amdhsa_float_denorm_mode_32 3
		.amdhsa_float_denorm_mode_16_64 3
		.amdhsa_dx10_clamp 1
		.amdhsa_ieee_mode 1
		.amdhsa_fp16_overflow 0
		.amdhsa_tg_split 0
		.amdhsa_exception_fp_ieee_invalid_op 0
		.amdhsa_exception_fp_denorm_src 0
		.amdhsa_exception_fp_ieee_div_zero 0
		.amdhsa_exception_fp_ieee_overflow 0
		.amdhsa_exception_fp_ieee_underflow 0
		.amdhsa_exception_fp_ieee_inexact 0
		.amdhsa_exception_int_div_zero 0
	.end_amdhsa_kernel
	.section	.text._ZN4vllm32rms_norm_static_fp8_quant_kernelIN3c104HalfENS1_15Float8_e4m3fnuzELi4EEEvPT0_PKT_iS8_PKffii,"axG",@progbits,_ZN4vllm32rms_norm_static_fp8_quant_kernelIN3c104HalfENS1_15Float8_e4m3fnuzELi4EEEvPT0_PKT_iS8_PKffii,comdat
.Lfunc_end17:
	.size	_ZN4vllm32rms_norm_static_fp8_quant_kernelIN3c104HalfENS1_15Float8_e4m3fnuzELi4EEEvPT0_PKT_iS8_PKffii, .Lfunc_end17-_ZN4vllm32rms_norm_static_fp8_quant_kernelIN3c104HalfENS1_15Float8_e4m3fnuzELi4EEEvPT0_PKT_iS8_PKffii
                                        ; -- End function
	.section	.AMDGPU.csdata,"",@progbits
; Kernel info:
; codeLenInByte = 2180
; NumSgprs: 28
; NumVgprs: 22
; NumAgprs: 0
; TotalNumVgprs: 22
; ScratchSize: 0
; MemoryBound: 0
; FloatMode: 240
; IeeeMode: 1
; LDSByteSize: 68 bytes/workgroup (compile time only)
; SGPRBlocks: 3
; VGPRBlocks: 2
; NumSGPRsForWavesPerEU: 28
; NumVGPRsForWavesPerEU: 22
; AccumOffset: 24
; Occupancy: 8
; WaveLimiterHint : 0
; COMPUTE_PGM_RSRC2:SCRATCH_EN: 0
; COMPUTE_PGM_RSRC2:USER_SGPR: 2
; COMPUTE_PGM_RSRC2:TRAP_HANDLER: 0
; COMPUTE_PGM_RSRC2:TGID_X_EN: 1
; COMPUTE_PGM_RSRC2:TGID_Y_EN: 0
; COMPUTE_PGM_RSRC2:TGID_Z_EN: 0
; COMPUTE_PGM_RSRC2:TIDIG_COMP_CNT: 0
; COMPUTE_PGM_RSRC3_GFX90A:ACCUM_OFFSET: 5
; COMPUTE_PGM_RSRC3_GFX90A:TG_SPLIT: 0
	.section	.text._ZN4vllm32rms_norm_static_fp8_quant_kernelIN3c104HalfENS1_15Float8_e4m3fnuzELi2EEEvPT0_PKT_iS8_PKffii,"axG",@progbits,_ZN4vllm32rms_norm_static_fp8_quant_kernelIN3c104HalfENS1_15Float8_e4m3fnuzELi2EEEvPT0_PKT_iS8_PKffii,comdat
	.protected	_ZN4vllm32rms_norm_static_fp8_quant_kernelIN3c104HalfENS1_15Float8_e4m3fnuzELi2EEEvPT0_PKT_iS8_PKffii ; -- Begin function _ZN4vllm32rms_norm_static_fp8_quant_kernelIN3c104HalfENS1_15Float8_e4m3fnuzELi2EEEvPT0_PKT_iS8_PKffii
	.globl	_ZN4vllm32rms_norm_static_fp8_quant_kernelIN3c104HalfENS1_15Float8_e4m3fnuzELi2EEEvPT0_PKT_iS8_PKffii
	.p2align	8
	.type	_ZN4vllm32rms_norm_static_fp8_quant_kernelIN3c104HalfENS1_15Float8_e4m3fnuzELi2EEEvPT0_PKT_iS8_PKffii,@function
_ZN4vllm32rms_norm_static_fp8_quant_kernelIN3c104HalfENS1_15Float8_e4m3fnuzELi2EEEvPT0_PKT_iS8_PKffii: ; @_ZN4vllm32rms_norm_static_fp8_quant_kernelIN3c104HalfENS1_15Float8_e4m3fnuzELi2EEEvPT0_PKT_iS8_PKffii
; %bb.0:
	s_load_dword s6, s[0:1], 0x10
	s_load_dwordx2 s[4:5], s[0:1], 0x8
	s_load_dword s3, s[0:1], 0x30
	s_load_dword s12, s[0:1], 0x44
	s_mov_b32 s11, 0
	s_waitcnt lgkmcnt(0)
	s_mul_i32 s10, s2, s6
	s_lshl_b64 s[6:7], s[10:11], 1
	s_add_u32 s8, s4, s6
	s_addc_u32 s9, s5, s7
	s_and_b32 s18, s12, 0xffff
	s_and_b32 s10, s8, 3
	s_cmp_lg_u64 s[10:11], 0
	s_cselect_b64 s[10:11], -1, 0
	s_bitcmp1_b32 s3, 0
	s_cselect_b64 s[12:13], -1, 0
	s_or_b64 s[10:11], s[10:11], s[12:13]
	s_and_b64 vcc, exec, s[10:11]
	s_cbranch_vccz .LBB18_13
; %bb.1:
	s_sub_i32 s10, 0, s8
	s_bfe_u32 s10, s10, 0x10001
	s_min_i32 s10, s10, s3
	v_cmp_gt_i32_e32 vcc, s10, v0
	v_mov_b32_e32 v3, 0
	s_and_saveexec_b64 s[12:13], vcc
	s_cbranch_execz .LBB18_4
; %bb.2:
	s_lshl_b32 s11, s18, 1
	s_mov_b32 s16, 0
	v_mov_b32_e32 v1, 0
	s_mov_b64 s[14:15], s[8:9]
	v_mov_b32_e32 v3, 0
.LBB18_3:                               ; =>This Inner Loop Header: Depth=1
	global_load_ushort v2, v1, s[14:15]
	s_add_i32 s16, s16, s18
	s_add_u32 s14, s14, s11
	s_addc_u32 s15, s15, 0
	s_cmp_ge_i32 s16, s10
	s_waitcnt vmcnt(0)
	v_fma_mix_f32 v3, v2, v2, v3 op_sel_hi:[1,1,0]
	s_cbranch_scc0 .LBB18_3
.LBB18_4:
	s_or_b64 exec, exec, s[12:13]
	s_sub_i32 s19, s3, s10
	s_lshr_b32 s12, s19, 31
	s_add_i32 s12, s19, s12
	s_ashr_i32 s20, s12, 1
	s_ashr_i32 s11, s10, 31
	v_cmp_gt_i32_e32 vcc, s20, v0
	s_and_saveexec_b64 s[12:13], vcc
	s_cbranch_execz .LBB18_8
; %bb.5:
	s_lshl_b64 s[16:17], s[10:11], 1
	s_add_u32 s14, s4, s6
	s_addc_u32 s21, s5, s7
	s_add_u32 s16, s14, s16
	v_lshlrev_b32_e32 v4, 2, v0
	v_mov_b32_e32 v5, 0
	s_addc_u32 s17, s21, s17
	v_lshl_add_u64 v[4:5], s[16:17], 0, v[4:5]
	s_mov_b32 s15, 0
	v_lshl_add_u64 v[4:5], v[4:5], 0, 2
	s_lshl_b32 s14, s18, 2
	s_mov_b64 s[16:17], 0
	v_mov_b32_e32 v1, v0
.LBB18_6:                               ; =>This Inner Loop Header: Depth=1
	global_load_dword v2, v[4:5], off offset:-2
	v_add_u32_e32 v1, s18, v1
	v_cmp_le_i32_e32 vcc, s20, v1
	v_lshl_add_u64 v[4:5], v[4:5], 0, s[14:15]
	s_or_b64 s[16:17], vcc, s[16:17]
	s_waitcnt vmcnt(0)
	v_fma_mix_f32 v3, v2, v2, v3 op_sel_hi:[1,1,0]
	s_nop 0
	v_fma_mix_f32 v3, v2, v2, v3 op_sel:[1,1,0] op_sel_hi:[1,1,0]
	s_andn2_b64 exec, exec, s[16:17]
	s_cbranch_execnz .LBB18_6
; %bb.7:
	s_or_b64 exec, exec, s[16:17]
.LBB18_8:
	s_or_b64 exec, exec, s[12:13]
	v_lshl_add_u32 v4, s20, 1, v0
	v_cmp_gt_i32_e32 vcc, s19, v4
	s_and_saveexec_b64 s[12:13], vcc
	s_cbranch_execz .LBB18_12
; %bb.9:
	s_lshl_b64 s[10:11], s[10:11], 1
	s_add_u32 s14, s4, s6
	s_addc_u32 s15, s5, s7
	s_add_u32 s10, s14, s10
	v_ashrrev_i32_e32 v5, 31, v4
	s_addc_u32 s11, s15, s11
	v_lshl_add_u64 v[6:7], v[4:5], 1, s[10:11]
	s_lshl_b32 s10, s18, 1
	s_mov_b32 s11, 0
	s_mov_b64 s[14:15], 0
.LBB18_10:                              ; =>This Inner Loop Header: Depth=1
	global_load_ushort v1, v[6:7], off
	v_add_u32_e32 v4, s18, v4
	v_cmp_le_i32_e32 vcc, s19, v4
	v_lshl_add_u64 v[6:7], v[6:7], 0, s[10:11]
	s_or_b64 s[14:15], vcc, s[14:15]
	s_waitcnt vmcnt(0)
	v_fma_mix_f32 v3, v1, v1, v3 op_sel_hi:[1,1,0]
	s_andn2_b64 exec, exec, s[14:15]
	s_cbranch_execnz .LBB18_10
; %bb.11:
	s_or_b64 exec, exec, s[14:15]
.LBB18_12:
	s_or_b64 exec, exec, s[12:13]
	s_branch .LBB18_19
.LBB18_13:
                                        ; implicit-def: $vgpr3
	s_cbranch_execz .LBB18_19
; %bb.14:
	s_ashr_i32 s14, s3, 1
	v_cmp_gt_i32_e32 vcc, s14, v0
	v_mov_b32_e32 v3, 0
	s_and_saveexec_b64 s[10:11], vcc
	s_cbranch_execz .LBB18_18
; %bb.15:
	s_add_u32 s4, s4, s6
	v_lshlrev_b32_e32 v2, 2, v0
	v_mov_b32_e32 v3, 0
	s_addc_u32 s5, s5, s7
	v_lshl_add_u64 v[4:5], s[4:5], 0, v[2:3]
	s_mov_b32 s13, 0
	v_lshl_add_u64 v[4:5], v[4:5], 0, 2
	s_lshl_b32 s12, s18, 2
	s_mov_b64 s[4:5], 0
	v_mov_b32_e32 v1, v0
.LBB18_16:                              ; =>This Inner Loop Header: Depth=1
	global_load_dword v2, v[4:5], off offset:-2
	v_add_u32_e32 v1, s18, v1
	v_cmp_le_i32_e32 vcc, s14, v1
	v_lshl_add_u64 v[4:5], v[4:5], 0, s[12:13]
	s_or_b64 s[4:5], vcc, s[4:5]
	s_waitcnt vmcnt(0)
	v_fma_mix_f32 v3, v2, v2, v3 op_sel_hi:[1,1,0]
	s_nop 0
	v_fma_mix_f32 v3, v2, v2, v3 op_sel:[1,1,0] op_sel_hi:[1,1,0]
	s_andn2_b64 exec, exec, s[4:5]
	s_cbranch_execnz .LBB18_16
; %bb.17:
	s_or_b64 exec, exec, s[4:5]
.LBB18_18:
	s_or_b64 exec, exec, s[10:11]
.LBB18_19:
	v_mbcnt_lo_u32_b32 v1, -1, 0
	v_mbcnt_hi_u32_b32 v1, -1, v1
	v_and_b32_e32 v2, 63, v1
	v_cmp_ne_u32_e32 vcc, 63, v2
	v_and_b32_e32 v5, 0x3c0, v0
	v_sub_u32_e64 v5, s18, v5 clamp
	v_addc_co_u32_e32 v4, vcc, 0, v1, vcc
	v_lshlrev_b32_e32 v4, 2, v4
	ds_bpermute_b32 v4, v4, v3
	v_add_u32_e32 v6, 1, v1
	v_cmp_lt_u32_e32 vcc, v6, v5
	v_add_u32_e32 v6, 2, v1
	s_waitcnt lgkmcnt(0)
	v_add_f32_e32 v4, v3, v4
	v_cndmask_b32_e32 v3, v3, v4, vcc
	v_cmp_gt_u32_e32 vcc, 62, v2
	s_nop 1
	v_cndmask_b32_e64 v4, 0, 1, vcc
	v_lshlrev_b32_e32 v4, 1, v4
	v_add_lshl_u32 v4, v4, v1, 2
	ds_bpermute_b32 v4, v4, v3
	v_cmp_lt_u32_e32 vcc, v6, v5
	v_add_u32_e32 v6, 4, v1
	s_waitcnt lgkmcnt(0)
	v_add_f32_e32 v4, v3, v4
	v_cndmask_b32_e32 v3, v3, v4, vcc
	v_cmp_gt_u32_e32 vcc, 60, v2
	s_nop 1
	v_cndmask_b32_e64 v4, 0, 1, vcc
	v_lshlrev_b32_e32 v4, 2, v4
	v_add_lshl_u32 v4, v4, v1, 2
	ds_bpermute_b32 v4, v4, v3
	;; [unrolled: 11-line block ×4, first 2 shown]
	v_cmp_lt_u32_e32 vcc, v6, v5
	s_waitcnt lgkmcnt(0)
	v_add_f32_e32 v4, v3, v4
	v_cndmask_b32_e32 v3, v3, v4, vcc
	v_cmp_gt_u32_e32 vcc, 32, v2
	v_add_u32_e32 v4, 32, v1
	s_nop 0
	v_cndmask_b32_e64 v2, 0, 1, vcc
	v_lshlrev_b32_e32 v2, 5, v2
	v_add_lshl_u32 v2, v2, v1, 2
	ds_bpermute_b32 v2, v2, v3
	v_cmp_lt_u32_e32 vcc, v4, v5
	s_waitcnt lgkmcnt(0)
	v_add_f32_e32 v2, v3, v2
	v_cndmask_b32_e32 v2, v3, v2, vcc
	v_cmp_eq_u32_e32 vcc, 0, v1
	s_and_saveexec_b64 s[4:5], vcc
	s_cbranch_execz .LBB18_21
; %bb.20:
	v_lshrrev_b32_e32 v3, 4, v0
	v_and_b32_e32 v3, 60, v3
	ds_write_b32 v3, v2
.LBB18_21:
	s_or_b64 exec, exec, s[4:5]
	v_cmp_gt_u32_e32 vcc, 16, v0
	s_waitcnt lgkmcnt(0)
	s_barrier
	s_and_saveexec_b64 s[6:7], vcc
	s_cbranch_execz .LBB18_23
; %bb.22:
	v_lshlrev_b32_e32 v2, 2, v1
	ds_read_b32 v2, v2
	v_and_b32_e32 v3, 15, v1
	v_cmp_ne_u32_e32 vcc, 15, v3
	s_add_i32 s4, s18, 63
	s_lshr_b32 s10, s4, 6
	v_addc_co_u32_e32 v4, vcc, 0, v1, vcc
	v_lshlrev_b32_e32 v4, 2, v4
	s_waitcnt lgkmcnt(0)
	ds_bpermute_b32 v4, v4, v2
	v_add_u32_e32 v5, 1, v3
	v_cmp_gt_u32_e64 s[4:5], 14, v3
	v_cmp_gt_u32_e32 vcc, s10, v5
	v_add_u32_e32 v6, 2, v3
	v_cndmask_b32_e64 v5, 0, 1, s[4:5]
	s_waitcnt lgkmcnt(0)
	v_add_f32_e32 v4, v2, v4
	v_lshlrev_b32_e32 v5, 1, v5
	v_cndmask_b32_e32 v4, v2, v4, vcc
	v_add_lshl_u32 v5, v5, v1, 2
	ds_bpermute_b32 v5, v5, v4
	v_cmp_gt_u32_e64 s[4:5], s10, v6
	v_add_u32_e32 v6, 4, v3
	s_waitcnt lgkmcnt(0)
	v_add_f32_e32 v5, v4, v5
	v_cndmask_b32_e64 v4, v4, v5, s[4:5]
	v_cmp_gt_u32_e64 s[4:5], 12, v3
	s_nop 1
	v_cndmask_b32_e64 v5, 0, 1, s[4:5]
	v_lshlrev_b32_e32 v5, 2, v5
	v_add_lshl_u32 v5, v5, v1, 2
	ds_bpermute_b32 v5, v5, v4
	v_cmp_gt_u32_e64 s[4:5], s10, v6
	s_waitcnt lgkmcnt(0)
	v_add_f32_e32 v5, v4, v5
	v_cndmask_b32_e64 v4, v4, v5, s[4:5]
	v_cmp_gt_u32_e64 s[4:5], 8, v3
	v_add_u32_e32 v3, 8, v3
	s_nop 0
	v_cndmask_b32_e64 v5, 0, 1, s[4:5]
	v_lshlrev_b32_e32 v5, 3, v5
	v_add_lshl_u32 v1, v5, v1, 2
	ds_bpermute_b32 v1, v1, v4
	v_cmp_gt_u32_e64 s[4:5], s10, v3
	s_waitcnt lgkmcnt(0)
	v_add_f32_e32 v1, v4, v1
	v_cndmask_b32_e64 v1, v4, v1, s[4:5]
	v_cndmask_b32_e32 v2, v2, v1, vcc
.LBB18_23:
	s_or_b64 exec, exec, s[6:7]
	v_cmp_eq_u32_e32 vcc, 0, v0
	s_and_saveexec_b64 s[4:5], vcc
	s_cbranch_execz .LBB18_25
; %bb.24:
	v_cvt_f32_i32_e32 v1, s3
	s_load_dword s10, s[0:1], 0x28
	v_div_scale_f32 v3, s[6:7], v1, v1, v2
	v_rcp_f32_e32 v4, v3
	v_div_scale_f32 v5, vcc, v2, v1, v2
	s_mov_b32 s6, 0x800000
	v_fma_f32 v6, -v3, v4, 1.0
	v_fmac_f32_e32 v4, v6, v4
	v_mul_f32_e32 v6, v5, v4
	v_fma_f32 v7, -v3, v6, v5
	v_fmac_f32_e32 v6, v7, v4
	v_fma_f32 v3, -v3, v6, v5
	v_div_fmas_f32 v3, v3, v4, v6
	v_div_fixup_f32 v1, v3, v1, v2
	s_waitcnt lgkmcnt(0)
	v_add_f32_e32 v1, s10, v1
	v_mul_f32_e32 v2, 0x4b800000, v1
	v_cmp_gt_f32_e32 vcc, s6, v1
	s_nop 1
	v_cndmask_b32_e32 v1, v1, v2, vcc
	v_rsq_f32_e32 v1, v1
	s_nop 0
	v_mul_f32_e32 v2, 0x45800000, v1
	v_cndmask_b32_e32 v1, v1, v2, vcc
	v_mov_b32_e32 v2, 0
	ds_write_b32 v2, v1 offset:64
.LBB18_25:
	s_or_b64 exec, exec, s[4:5]
	s_lshr_b32 s4, s3, 31
	s_add_i32 s4, s3, s4
	s_ashr_i32 s14, s4, 1
	v_cmp_gt_i32_e32 vcc, s14, v0
	s_waitcnt lgkmcnt(0)
	s_barrier
	s_and_saveexec_b64 s[4:5], vcc
	s_cbranch_execz .LBB18_28
; %bb.26:
	s_load_dwordx4 s[4:7], s[0:1], 0x18
	s_load_dwordx2 s[10:11], s[0:1], 0x0
	s_mul_i32 s2, s2, s3
	v_mov_b32_e32 v3, 0
	ds_read_b32 v1, v3 offset:64
	s_waitcnt lgkmcnt(0)
	s_load_dword s3, s[6:7], 0x0
	s_lshl_b32 s15, s18, 1
	v_lshl_or_b32 v2, v0, 2, 2
	v_lshl_add_u32 v4, v0, 1, s2
	s_lshl_b32 s6, s18, 2
	s_waitcnt lgkmcnt(0)
	v_div_scale_f32 v5, s[0:1], s3, s3, 1.0
	v_rcp_f32_e32 v6, v5
	v_div_scale_f32 v7, vcc, 1.0, s3, 1.0
	s_mov_b32 s7, 0
	v_fma_f32 v8, -v5, v6, 1.0
	v_fmac_f32_e32 v6, v8, v6
	v_mul_f32_e32 v8, v7, v6
	v_fma_f32 v9, -v5, v8, v7
	v_fmac_f32_e32 v8, v9, v6
	v_fma_f32 v5, -v5, v8, v7
	v_div_fmas_f32 v5, v5, v6, v8
	v_div_fixup_f32 v5, v5, s3, 1.0
	s_mov_b64 s[12:13], 0
	s_mov_b32 s16, 0x7f800000
	s_mov_b32 s17, 0x43700000
	v_mov_b32_e32 v6, 0xc3700000
.LBB18_27:                              ; =>This Inner Loop Header: Depth=1
	v_lshl_add_u64 v[8:9], s[8:9], 0, v[2:3]
	v_lshl_add_u64 v[10:11], s[4:5], 0, v[2:3]
	global_load_dword v7, v[8:9], off offset:-2
	global_load_dword v12, v[10:11], off offset:-2
	v_mov_b32_e32 v8, 0
	v_mov_b32_e32 v9, 0
	v_add_u32_e32 v0, s18, v0
	v_cmp_le_i32_e32 vcc, s14, v0
	v_add_u32_e32 v10, 1, v4
	v_lshl_add_u64 v[2:3], v[2:3], 0, s[6:7]
	s_or_b64 s[12:13], vcc, s[12:13]
	s_waitcnt vmcnt(1)
	v_fma_mixlo_f16 v11, v1, v7, 0 op_sel_hi:[0,1,0]
	v_fma_mixlo_f16 v7, v1, v7, 0 op_sel:[0,1,0] op_sel_hi:[0,1,0]
	s_waitcnt vmcnt(0)
	v_mul_f16_e32 v11, v12, v11
	v_mul_f16_sdwa v7, v12, v7 dst_sel:DWORD dst_unused:UNUSED_PAD src0_sel:WORD_1 src1_sel:DWORD
	v_cvt_f32_f16_e32 v11, v11
	v_cvt_f32_f16_e32 v7, v7
	v_mul_f32_e32 v11, v5, v11
	v_mul_f32_e32 v7, v5, v7
	v_min_f32_e32 v11, 0x43600000, v11
	v_min_f32_e32 v7, 0x43600000, v7
	v_max_f32_e32 v11, 0xc3600000, v11
	v_max_f32_e32 v7, 0xc3600000, v7
	v_med3_f32 v12, v11, s17, v6
	v_cmp_nlg_f32_e64 s[2:3], |v11|, s16
	v_med3_f32 v13, v7, s17, v6
	v_cmp_nlg_f32_e64 s[0:1], |v7|, s16
	v_cndmask_b32_e64 v11, v12, v11, s[2:3]
	v_cvt_pk_fp8_f32 v8, v11, v11
	v_cndmask_b32_e64 v7, v13, v7, s[0:1]
	v_cvt_pk_fp8_f32 v9, v7, v7
	global_store_byte v4, v8, s[10:11]
	global_store_byte v10, v9, s[10:11]
	v_add_u32_e32 v4, s15, v4
	s_andn2_b64 exec, exec, s[12:13]
	s_cbranch_execnz .LBB18_27
.LBB18_28:
	s_endpgm
	.section	.rodata,"a",@progbits
	.p2align	6, 0x0
	.amdhsa_kernel _ZN4vllm32rms_norm_static_fp8_quant_kernelIN3c104HalfENS1_15Float8_e4m3fnuzELi2EEEvPT0_PKT_iS8_PKffii
		.amdhsa_group_segment_fixed_size 68
		.amdhsa_private_segment_fixed_size 0
		.amdhsa_kernarg_size 312
		.amdhsa_user_sgpr_count 2
		.amdhsa_user_sgpr_dispatch_ptr 0
		.amdhsa_user_sgpr_queue_ptr 0
		.amdhsa_user_sgpr_kernarg_segment_ptr 1
		.amdhsa_user_sgpr_dispatch_id 0
		.amdhsa_user_sgpr_kernarg_preload_length 0
		.amdhsa_user_sgpr_kernarg_preload_offset 0
		.amdhsa_user_sgpr_private_segment_size 0
		.amdhsa_uses_dynamic_stack 0
		.amdhsa_enable_private_segment 0
		.amdhsa_system_sgpr_workgroup_id_x 1
		.amdhsa_system_sgpr_workgroup_id_y 0
		.amdhsa_system_sgpr_workgroup_id_z 0
		.amdhsa_system_sgpr_workgroup_info 0
		.amdhsa_system_vgpr_workitem_id 0
		.amdhsa_next_free_vgpr 14
		.amdhsa_next_free_sgpr 22
		.amdhsa_accum_offset 16
		.amdhsa_reserve_vcc 1
		.amdhsa_float_round_mode_32 0
		.amdhsa_float_round_mode_16_64 0
		.amdhsa_float_denorm_mode_32 3
		.amdhsa_float_denorm_mode_16_64 3
		.amdhsa_dx10_clamp 1
		.amdhsa_ieee_mode 1
		.amdhsa_fp16_overflow 0
		.amdhsa_tg_split 0
		.amdhsa_exception_fp_ieee_invalid_op 0
		.amdhsa_exception_fp_denorm_src 0
		.amdhsa_exception_fp_ieee_div_zero 0
		.amdhsa_exception_fp_ieee_overflow 0
		.amdhsa_exception_fp_ieee_underflow 0
		.amdhsa_exception_fp_ieee_inexact 0
		.amdhsa_exception_int_div_zero 0
	.end_amdhsa_kernel
	.section	.text._ZN4vllm32rms_norm_static_fp8_quant_kernelIN3c104HalfENS1_15Float8_e4m3fnuzELi2EEEvPT0_PKT_iS8_PKffii,"axG",@progbits,_ZN4vllm32rms_norm_static_fp8_quant_kernelIN3c104HalfENS1_15Float8_e4m3fnuzELi2EEEvPT0_PKT_iS8_PKffii,comdat
.Lfunc_end18:
	.size	_ZN4vllm32rms_norm_static_fp8_quant_kernelIN3c104HalfENS1_15Float8_e4m3fnuzELi2EEEvPT0_PKT_iS8_PKffii, .Lfunc_end18-_ZN4vllm32rms_norm_static_fp8_quant_kernelIN3c104HalfENS1_15Float8_e4m3fnuzELi2EEEvPT0_PKT_iS8_PKffii
                                        ; -- End function
	.section	.AMDGPU.csdata,"",@progbits
; Kernel info:
; codeLenInByte = 1920
; NumSgprs: 28
; NumVgprs: 14
; NumAgprs: 0
; TotalNumVgprs: 14
; ScratchSize: 0
; MemoryBound: 0
; FloatMode: 240
; IeeeMode: 1
; LDSByteSize: 68 bytes/workgroup (compile time only)
; SGPRBlocks: 3
; VGPRBlocks: 1
; NumSGPRsForWavesPerEU: 28
; NumVGPRsForWavesPerEU: 14
; AccumOffset: 16
; Occupancy: 8
; WaveLimiterHint : 0
; COMPUTE_PGM_RSRC2:SCRATCH_EN: 0
; COMPUTE_PGM_RSRC2:USER_SGPR: 2
; COMPUTE_PGM_RSRC2:TRAP_HANDLER: 0
; COMPUTE_PGM_RSRC2:TGID_X_EN: 1
; COMPUTE_PGM_RSRC2:TGID_Y_EN: 0
; COMPUTE_PGM_RSRC2:TGID_Z_EN: 0
; COMPUTE_PGM_RSRC2:TIDIG_COMP_CNT: 0
; COMPUTE_PGM_RSRC3_GFX90A:ACCUM_OFFSET: 3
; COMPUTE_PGM_RSRC3_GFX90A:TG_SPLIT: 0
	.section	.text._ZN4vllm32rms_norm_static_fp8_quant_kernelIN3c104HalfENS1_15Float8_e4m3fnuzELi1EEEvPT0_PKT_iS8_PKffii,"axG",@progbits,_ZN4vllm32rms_norm_static_fp8_quant_kernelIN3c104HalfENS1_15Float8_e4m3fnuzELi1EEEvPT0_PKT_iS8_PKffii,comdat
	.protected	_ZN4vllm32rms_norm_static_fp8_quant_kernelIN3c104HalfENS1_15Float8_e4m3fnuzELi1EEEvPT0_PKT_iS8_PKffii ; -- Begin function _ZN4vllm32rms_norm_static_fp8_quant_kernelIN3c104HalfENS1_15Float8_e4m3fnuzELi1EEEvPT0_PKT_iS8_PKffii
	.globl	_ZN4vllm32rms_norm_static_fp8_quant_kernelIN3c104HalfENS1_15Float8_e4m3fnuzELi1EEEvPT0_PKT_iS8_PKffii
	.p2align	8
	.type	_ZN4vllm32rms_norm_static_fp8_quant_kernelIN3c104HalfENS1_15Float8_e4m3fnuzELi1EEEvPT0_PKT_iS8_PKffii,@function
_ZN4vllm32rms_norm_static_fp8_quant_kernelIN3c104HalfENS1_15Float8_e4m3fnuzELi1EEEvPT0_PKT_iS8_PKffii: ; @_ZN4vllm32rms_norm_static_fp8_quant_kernelIN3c104HalfENS1_15Float8_e4m3fnuzELi1EEEvPT0_PKT_iS8_PKffii
; %bb.0:
	s_load_dword s4, s[0:1], 0x10
	s_load_dwordx2 s[6:7], s[0:1], 0x8
	s_load_dword s3, s[0:1], 0x30
	s_load_dword s12, s[0:1], 0x44
	s_mov_b32 s5, 0
	s_waitcnt lgkmcnt(0)
	s_mul_i32 s4, s2, s4
	s_lshl_b64 s[10:11], s[4:5], 1
	s_add_u32 s8, s6, s10
	s_addc_u32 s9, s7, s11
	s_and_b32 s16, s12, 0xffff
	s_bitcmp1_b32 s8, 0
	s_cselect_b64 s[4:5], -1, 0
	s_and_b64 vcc, exec, s[4:5]
	s_cbranch_vccz .LBB19_6
; %bb.1:
	s_min_i32 s12, s3, 0
	s_sub_i32 s17, s3, s12
	v_cmp_gt_i32_e32 vcc, s17, v0
	v_mov_b32_e32 v3, 0
	s_and_saveexec_b64 s[4:5], vcc
	s_cbranch_execz .LBB19_5
; %bb.2:
	s_ashr_i32 s13, s12, 31
	s_lshl_b64 s[14:15], s[12:13], 1
	s_add_u32 s12, s6, s10
	s_addc_u32 s18, s7, s11
	s_add_u32 s14, s12, s14
	v_lshlrev_b32_e32 v2, 1, v0
	v_mov_b32_e32 v3, 0
	s_addc_u32 s15, s18, s15
	s_mov_b32 s13, 0
	v_lshl_add_u64 v[4:5], s[14:15], 0, v[2:3]
	s_lshl_b32 s12, s16, 1
	s_mov_b64 s[14:15], 0
	v_mov_b32_e32 v1, v0
.LBB19_3:                               ; =>This Inner Loop Header: Depth=1
	global_load_ushort v2, v[4:5], off
	v_add_u32_e32 v1, s16, v1
	v_cmp_le_i32_e32 vcc, s17, v1
	v_lshl_add_u64 v[4:5], v[4:5], 0, s[12:13]
	s_or_b64 s[14:15], vcc, s[14:15]
	s_waitcnt vmcnt(0)
	v_fma_mix_f32 v3, v2, v2, v3 op_sel_hi:[1,1,0]
	s_andn2_b64 exec, exec, s[14:15]
	s_cbranch_execnz .LBB19_3
; %bb.4:
	s_or_b64 exec, exec, s[14:15]
.LBB19_5:
	s_or_b64 exec, exec, s[4:5]
	v_cmp_gt_i32_e64 s[4:5], s3, v0
	s_cbranch_execz .LBB19_7
	s_branch .LBB19_12
.LBB19_6:
                                        ; implicit-def: $vgpr3
	v_cmp_gt_i32_e64 s[4:5], s3, v0
.LBB19_7:
	v_mov_b32_e32 v3, 0
	s_and_saveexec_b64 s[12:13], s[4:5]
	s_cbranch_execz .LBB19_11
; %bb.8:
	s_add_u32 s6, s6, s10
	v_lshlrev_b32_e32 v2, 1, v0
	v_mov_b32_e32 v3, 0
	s_addc_u32 s7, s7, s11
	s_mov_b32 s5, 0
	v_lshl_add_u64 v[4:5], s[6:7], 0, v[2:3]
	s_lshl_b32 s4, s16, 1
	s_mov_b64 s[6:7], 0
	v_mov_b32_e32 v1, v0
.LBB19_9:                               ; =>This Inner Loop Header: Depth=1
	global_load_ushort v2, v[4:5], off
	v_add_u32_e32 v1, s16, v1
	v_cmp_le_i32_e32 vcc, s3, v1
	v_lshl_add_u64 v[4:5], v[4:5], 0, s[4:5]
	s_or_b64 s[6:7], vcc, s[6:7]
	s_waitcnt vmcnt(0)
	v_fma_mix_f32 v3, v2, v2, v3 op_sel_hi:[1,1,0]
	s_andn2_b64 exec, exec, s[6:7]
	s_cbranch_execnz .LBB19_9
; %bb.10:
	s_or_b64 exec, exec, s[6:7]
.LBB19_11:
	s_or_b64 exec, exec, s[12:13]
.LBB19_12:
	v_mbcnt_lo_u32_b32 v1, -1, 0
	v_mbcnt_hi_u32_b32 v1, -1, v1
	v_and_b32_e32 v2, 63, v1
	v_cmp_ne_u32_e32 vcc, 63, v2
	v_and_b32_e32 v5, 0x3c0, v0
	v_sub_u32_e64 v5, s16, v5 clamp
	v_addc_co_u32_e32 v4, vcc, 0, v1, vcc
	v_lshlrev_b32_e32 v4, 2, v4
	ds_bpermute_b32 v4, v4, v3
	v_add_u32_e32 v6, 1, v1
	v_cmp_lt_u32_e32 vcc, v6, v5
	v_add_u32_e32 v6, 2, v1
	s_waitcnt lgkmcnt(0)
	v_add_f32_e32 v4, v3, v4
	v_cndmask_b32_e32 v3, v3, v4, vcc
	v_cmp_gt_u32_e32 vcc, 62, v2
	s_nop 1
	v_cndmask_b32_e64 v4, 0, 1, vcc
	v_lshlrev_b32_e32 v4, 1, v4
	v_add_lshl_u32 v4, v4, v1, 2
	ds_bpermute_b32 v4, v4, v3
	v_cmp_lt_u32_e32 vcc, v6, v5
	v_add_u32_e32 v6, 4, v1
	s_waitcnt lgkmcnt(0)
	v_add_f32_e32 v4, v3, v4
	v_cndmask_b32_e32 v3, v3, v4, vcc
	v_cmp_gt_u32_e32 vcc, 60, v2
	s_nop 1
	v_cndmask_b32_e64 v4, 0, 1, vcc
	v_lshlrev_b32_e32 v4, 2, v4
	v_add_lshl_u32 v4, v4, v1, 2
	ds_bpermute_b32 v4, v4, v3
	v_cmp_lt_u32_e32 vcc, v6, v5
	v_add_u32_e32 v6, 8, v1
	s_waitcnt lgkmcnt(0)
	v_add_f32_e32 v4, v3, v4
	v_cndmask_b32_e32 v3, v3, v4, vcc
	v_cmp_gt_u32_e32 vcc, 56, v2
	s_nop 1
	v_cndmask_b32_e64 v4, 0, 1, vcc
	v_lshlrev_b32_e32 v4, 3, v4
	v_add_lshl_u32 v4, v4, v1, 2
	ds_bpermute_b32 v4, v4, v3
	v_cmp_lt_u32_e32 vcc, v6, v5
	v_add_u32_e32 v6, 16, v1
	s_waitcnt lgkmcnt(0)
	v_add_f32_e32 v4, v3, v4
	v_cndmask_b32_e32 v3, v3, v4, vcc
	v_cmp_gt_u32_e32 vcc, 48, v2
	s_nop 1
	v_cndmask_b32_e64 v4, 0, 1, vcc
	v_lshlrev_b32_e32 v4, 4, v4
	v_add_lshl_u32 v4, v4, v1, 2
	ds_bpermute_b32 v4, v4, v3
	v_cmp_lt_u32_e32 vcc, v6, v5
	s_waitcnt lgkmcnt(0)
	v_add_f32_e32 v4, v3, v4
	v_cndmask_b32_e32 v3, v3, v4, vcc
	v_cmp_gt_u32_e32 vcc, 32, v2
	v_add_u32_e32 v4, 32, v1
	s_nop 0
	v_cndmask_b32_e64 v2, 0, 1, vcc
	v_lshlrev_b32_e32 v2, 5, v2
	v_add_lshl_u32 v2, v2, v1, 2
	ds_bpermute_b32 v2, v2, v3
	v_cmp_lt_u32_e32 vcc, v4, v5
	s_waitcnt lgkmcnt(0)
	v_add_f32_e32 v2, v3, v2
	v_cndmask_b32_e32 v2, v3, v2, vcc
	v_cmp_eq_u32_e32 vcc, 0, v1
	s_and_saveexec_b64 s[4:5], vcc
	s_cbranch_execz .LBB19_14
; %bb.13:
	v_lshrrev_b32_e32 v3, 4, v0
	v_and_b32_e32 v3, 60, v3
	ds_write_b32 v3, v2
.LBB19_14:
	s_or_b64 exec, exec, s[4:5]
	v_cmp_gt_u32_e32 vcc, 16, v0
	s_waitcnt lgkmcnt(0)
	s_barrier
	s_and_saveexec_b64 s[6:7], vcc
	s_cbranch_execz .LBB19_16
; %bb.15:
	v_lshlrev_b32_e32 v2, 2, v1
	ds_read_b32 v2, v2
	v_and_b32_e32 v3, 15, v1
	v_cmp_ne_u32_e32 vcc, 15, v3
	s_add_i32 s4, s16, 63
	s_lshr_b32 s10, s4, 6
	v_addc_co_u32_e32 v4, vcc, 0, v1, vcc
	v_lshlrev_b32_e32 v4, 2, v4
	s_waitcnt lgkmcnt(0)
	ds_bpermute_b32 v4, v4, v2
	v_add_u32_e32 v5, 1, v3
	v_cmp_gt_u32_e64 s[4:5], 14, v3
	v_cmp_gt_u32_e32 vcc, s10, v5
	v_add_u32_e32 v6, 2, v3
	v_cndmask_b32_e64 v5, 0, 1, s[4:5]
	s_waitcnt lgkmcnt(0)
	v_add_f32_e32 v4, v2, v4
	v_lshlrev_b32_e32 v5, 1, v5
	v_cndmask_b32_e32 v4, v2, v4, vcc
	v_add_lshl_u32 v5, v5, v1, 2
	ds_bpermute_b32 v5, v5, v4
	v_cmp_gt_u32_e64 s[4:5], s10, v6
	v_add_u32_e32 v6, 4, v3
	s_waitcnt lgkmcnt(0)
	v_add_f32_e32 v5, v4, v5
	v_cndmask_b32_e64 v4, v4, v5, s[4:5]
	v_cmp_gt_u32_e64 s[4:5], 12, v3
	s_nop 1
	v_cndmask_b32_e64 v5, 0, 1, s[4:5]
	v_lshlrev_b32_e32 v5, 2, v5
	v_add_lshl_u32 v5, v5, v1, 2
	ds_bpermute_b32 v5, v5, v4
	v_cmp_gt_u32_e64 s[4:5], s10, v6
	s_waitcnt lgkmcnt(0)
	v_add_f32_e32 v5, v4, v5
	v_cndmask_b32_e64 v4, v4, v5, s[4:5]
	v_cmp_gt_u32_e64 s[4:5], 8, v3
	v_add_u32_e32 v3, 8, v3
	s_nop 0
	v_cndmask_b32_e64 v5, 0, 1, s[4:5]
	v_lshlrev_b32_e32 v5, 3, v5
	v_add_lshl_u32 v1, v5, v1, 2
	ds_bpermute_b32 v1, v1, v4
	v_cmp_gt_u32_e64 s[4:5], s10, v3
	s_waitcnt lgkmcnt(0)
	v_add_f32_e32 v1, v4, v1
	v_cndmask_b32_e64 v1, v4, v1, s[4:5]
	v_cndmask_b32_e32 v2, v2, v1, vcc
.LBB19_16:
	s_or_b64 exec, exec, s[6:7]
	v_cmp_eq_u32_e32 vcc, 0, v0
	s_and_saveexec_b64 s[4:5], vcc
	s_cbranch_execz .LBB19_18
; %bb.17:
	v_cvt_f32_i32_e32 v1, s3
	s_load_dword s10, s[0:1], 0x28
	v_div_scale_f32 v3, s[6:7], v1, v1, v2
	v_rcp_f32_e32 v4, v3
	v_div_scale_f32 v5, vcc, v2, v1, v2
	s_mov_b32 s6, 0x800000
	v_fma_f32 v6, -v3, v4, 1.0
	v_fmac_f32_e32 v4, v6, v4
	v_mul_f32_e32 v6, v5, v4
	v_fma_f32 v7, -v3, v6, v5
	v_fmac_f32_e32 v6, v7, v4
	v_fma_f32 v3, -v3, v6, v5
	v_div_fmas_f32 v3, v3, v4, v6
	v_div_fixup_f32 v1, v3, v1, v2
	s_waitcnt lgkmcnt(0)
	v_add_f32_e32 v1, s10, v1
	v_mul_f32_e32 v2, 0x4b800000, v1
	v_cmp_gt_f32_e32 vcc, s6, v1
	s_nop 1
	v_cndmask_b32_e32 v1, v1, v2, vcc
	v_rsq_f32_e32 v1, v1
	s_nop 0
	v_mul_f32_e32 v2, 0x45800000, v1
	v_cndmask_b32_e32 v1, v1, v2, vcc
	v_mov_b32_e32 v2, 0
	ds_write_b32 v2, v1 offset:64
.LBB19_18:
	s_or_b64 exec, exec, s[4:5]
	v_cmp_gt_i32_e32 vcc, s3, v0
	s_waitcnt lgkmcnt(0)
	s_barrier
	s_and_saveexec_b64 s[4:5], vcc
	s_cbranch_execz .LBB19_21
; %bb.19:
	s_load_dwordx4 s[4:7], s[0:1], 0x18
	s_load_dwordx2 s[10:11], s[0:1], 0x0
	v_mov_b32_e32 v1, 0
	ds_read_b32 v2, v1 offset:64
	s_mul_i32 s2, s2, s3
	s_waitcnt lgkmcnt(0)
	s_load_dword s14, s[6:7], 0x0
	s_mov_b64 s[0:1], 0
	s_mov_b32 s6, 0x7f800000
	s_mov_b32 s7, 0x43700000
	s_waitcnt lgkmcnt(0)
	v_div_scale_f32 v3, s[12:13], s14, s14, 1.0
	v_rcp_f32_e32 v4, v3
	v_div_scale_f32 v1, vcc, 1.0, s14, 1.0
	v_fma_f32 v5, -v3, v4, 1.0
	v_fmac_f32_e32 v4, v5, v4
	v_mul_f32_e32 v5, v1, v4
	v_fma_f32 v6, -v3, v5, v1
	v_fmac_f32_e32 v5, v6, v4
	v_fma_f32 v1, -v3, v5, v1
	v_div_fmas_f32 v1, v1, v4, v5
	v_div_fixup_f32 v3, v1, s14, 1.0
	v_mov_b32_e32 v4, 0xc3700000
.LBB19_20:                              ; =>This Inner Loop Header: Depth=1
	v_ashrrev_i32_e32 v1, 31, v0
	v_lshlrev_b64 v[6:7], 1, v[0:1]
	v_lshl_add_u64 v[8:9], s[8:9], 0, v[6:7]
	global_load_ushort v1, v[8:9], off
	v_lshl_add_u64 v[6:7], s[4:5], 0, v[6:7]
	global_load_ushort v5, v[6:7], off
	s_waitcnt vmcnt(1)
	v_fma_mixlo_f16 v1, v2, v1, 0 op_sel_hi:[0,1,0]
	s_waitcnt vmcnt(0)
	v_mul_f16_e32 v1, v5, v1
	v_cvt_f32_f16_e32 v1, v1
	v_mov_b32_e32 v5, 0
	v_mul_f32_e32 v1, v3, v1
	v_min_f32_e32 v1, 0x43600000, v1
	v_max_f32_e32 v1, 0xc3600000, v1
	v_med3_f32 v6, v1, s7, v4
	v_cmp_nlg_f32_e64 vcc, |v1|, s6
	s_nop 1
	v_cndmask_b32_e32 v1, v6, v1, vcc
	v_cvt_pk_fp8_f32 v5, v1, v1
	v_add_u32_e32 v1, s2, v0
	v_add_u32_e32 v0, s16, v0
	v_cmp_le_i32_e32 vcc, s3, v0
	s_or_b64 s[0:1], vcc, s[0:1]
	global_store_byte v1, v5, s[10:11]
	s_andn2_b64 exec, exec, s[0:1]
	s_cbranch_execnz .LBB19_20
.LBB19_21:
	s_endpgm
	.section	.rodata,"a",@progbits
	.p2align	6, 0x0
	.amdhsa_kernel _ZN4vllm32rms_norm_static_fp8_quant_kernelIN3c104HalfENS1_15Float8_e4m3fnuzELi1EEEvPT0_PKT_iS8_PKffii
		.amdhsa_group_segment_fixed_size 68
		.amdhsa_private_segment_fixed_size 0
		.amdhsa_kernarg_size 312
		.amdhsa_user_sgpr_count 2
		.amdhsa_user_sgpr_dispatch_ptr 0
		.amdhsa_user_sgpr_queue_ptr 0
		.amdhsa_user_sgpr_kernarg_segment_ptr 1
		.amdhsa_user_sgpr_dispatch_id 0
		.amdhsa_user_sgpr_kernarg_preload_length 0
		.amdhsa_user_sgpr_kernarg_preload_offset 0
		.amdhsa_user_sgpr_private_segment_size 0
		.amdhsa_uses_dynamic_stack 0
		.amdhsa_enable_private_segment 0
		.amdhsa_system_sgpr_workgroup_id_x 1
		.amdhsa_system_sgpr_workgroup_id_y 0
		.amdhsa_system_sgpr_workgroup_id_z 0
		.amdhsa_system_sgpr_workgroup_info 0
		.amdhsa_system_vgpr_workitem_id 0
		.amdhsa_next_free_vgpr 10
		.amdhsa_next_free_sgpr 19
		.amdhsa_accum_offset 12
		.amdhsa_reserve_vcc 1
		.amdhsa_float_round_mode_32 0
		.amdhsa_float_round_mode_16_64 0
		.amdhsa_float_denorm_mode_32 3
		.amdhsa_float_denorm_mode_16_64 3
		.amdhsa_dx10_clamp 1
		.amdhsa_ieee_mode 1
		.amdhsa_fp16_overflow 0
		.amdhsa_tg_split 0
		.amdhsa_exception_fp_ieee_invalid_op 0
		.amdhsa_exception_fp_denorm_src 0
		.amdhsa_exception_fp_ieee_div_zero 0
		.amdhsa_exception_fp_ieee_overflow 0
		.amdhsa_exception_fp_ieee_underflow 0
		.amdhsa_exception_fp_ieee_inexact 0
		.amdhsa_exception_int_div_zero 0
	.end_amdhsa_kernel
	.section	.text._ZN4vllm32rms_norm_static_fp8_quant_kernelIN3c104HalfENS1_15Float8_e4m3fnuzELi1EEEvPT0_PKT_iS8_PKffii,"axG",@progbits,_ZN4vllm32rms_norm_static_fp8_quant_kernelIN3c104HalfENS1_15Float8_e4m3fnuzELi1EEEvPT0_PKT_iS8_PKffii,comdat
.Lfunc_end19:
	.size	_ZN4vllm32rms_norm_static_fp8_quant_kernelIN3c104HalfENS1_15Float8_e4m3fnuzELi1EEEvPT0_PKT_iS8_PKffii, .Lfunc_end19-_ZN4vllm32rms_norm_static_fp8_quant_kernelIN3c104HalfENS1_15Float8_e4m3fnuzELi1EEEvPT0_PKT_iS8_PKffii
                                        ; -- End function
	.section	.AMDGPU.csdata,"",@progbits
; Kernel info:
; codeLenInByte = 1528
; NumSgprs: 25
; NumVgprs: 10
; NumAgprs: 0
; TotalNumVgprs: 10
; ScratchSize: 0
; MemoryBound: 0
; FloatMode: 240
; IeeeMode: 1
; LDSByteSize: 68 bytes/workgroup (compile time only)
; SGPRBlocks: 3
; VGPRBlocks: 1
; NumSGPRsForWavesPerEU: 25
; NumVGPRsForWavesPerEU: 10
; AccumOffset: 12
; Occupancy: 8
; WaveLimiterHint : 0
; COMPUTE_PGM_RSRC2:SCRATCH_EN: 0
; COMPUTE_PGM_RSRC2:USER_SGPR: 2
; COMPUTE_PGM_RSRC2:TRAP_HANDLER: 0
; COMPUTE_PGM_RSRC2:TGID_X_EN: 1
; COMPUTE_PGM_RSRC2:TGID_Y_EN: 0
; COMPUTE_PGM_RSRC2:TGID_Z_EN: 0
; COMPUTE_PGM_RSRC2:TIDIG_COMP_CNT: 0
; COMPUTE_PGM_RSRC3_GFX90A:ACCUM_OFFSET: 2
; COMPUTE_PGM_RSRC3_GFX90A:TG_SPLIT: 0
	.section	.text._ZN4vllm32rms_norm_static_fp8_quant_kernelIN3c108BFloat16ENS1_13Float8_e4m3fnELi16EEEvPT0_PKT_iS8_PKffii,"axG",@progbits,_ZN4vllm32rms_norm_static_fp8_quant_kernelIN3c108BFloat16ENS1_13Float8_e4m3fnELi16EEEvPT0_PKT_iS8_PKffii,comdat
	.protected	_ZN4vllm32rms_norm_static_fp8_quant_kernelIN3c108BFloat16ENS1_13Float8_e4m3fnELi16EEEvPT0_PKT_iS8_PKffii ; -- Begin function _ZN4vllm32rms_norm_static_fp8_quant_kernelIN3c108BFloat16ENS1_13Float8_e4m3fnELi16EEEvPT0_PKT_iS8_PKffii
	.globl	_ZN4vllm32rms_norm_static_fp8_quant_kernelIN3c108BFloat16ENS1_13Float8_e4m3fnELi16EEEvPT0_PKT_iS8_PKffii
	.p2align	8
	.type	_ZN4vllm32rms_norm_static_fp8_quant_kernelIN3c108BFloat16ENS1_13Float8_e4m3fnELi16EEEvPT0_PKT_iS8_PKffii,@function
_ZN4vllm32rms_norm_static_fp8_quant_kernelIN3c108BFloat16ENS1_13Float8_e4m3fnELi16EEEvPT0_PKT_iS8_PKffii: ; @_ZN4vllm32rms_norm_static_fp8_quant_kernelIN3c108BFloat16ENS1_13Float8_e4m3fnELi16EEEvPT0_PKT_iS8_PKffii
; %bb.0:
	s_load_dword s6, s[0:1], 0x10
	s_load_dwordx2 s[4:5], s[0:1], 0x8
	s_load_dword s3, s[0:1], 0x30
	s_load_dword s12, s[0:1], 0x44
	s_mov_b32 s11, 0
	s_waitcnt lgkmcnt(0)
	s_mul_i32 s10, s2, s6
	s_lshl_b64 s[6:7], s[10:11], 1
	s_add_u32 s8, s4, s6
	s_addc_u32 s9, s5, s7
	s_and_b32 s18, s12, 0xffff
	s_and_b32 s10, s8, 31
	s_cmp_lg_u64 s[10:11], 0
	s_cselect_b64 s[10:11], -1, 0
	s_and_b32 s12, s3, 15
	s_cmp_lg_u32 s12, 0
	s_cselect_b64 s[12:13], -1, 0
	s_or_b64 s[10:11], s[10:11], s[12:13]
	s_and_b64 vcc, exec, s[10:11]
	s_cbranch_vccz .LBB20_14
; %bb.1:
	s_sub_i32 s10, 0, s8
	s_bfe_u32 s10, s10, 0x40001
	s_min_i32 s10, s10, s3
	v_cmp_gt_i32_e32 vcc, s10, v0
	v_mov_b32_e32 v3, 0
	s_and_saveexec_b64 s[12:13], vcc
	s_cbranch_execz .LBB20_5
; %bb.2:
	s_add_u32 s16, s4, s6
	v_lshlrev_b32_e32 v2, 1, v0
	v_mov_b32_e32 v3, 0
	s_addc_u32 s17, s5, s7
	s_mov_b32 s15, 0
	v_lshl_add_u64 v[4:5], s[16:17], 0, v[2:3]
	s_lshl_b32 s14, s18, 1
	s_mov_b64 s[16:17], 0
	v_mov_b32_e32 v1, v0
.LBB20_3:                               ; =>This Inner Loop Header: Depth=1
	global_load_ushort v2, v[4:5], off
	v_add_u32_e32 v1, s18, v1
	v_cmp_le_i32_e32 vcc, s10, v1
	v_lshl_add_u64 v[4:5], v[4:5], 0, s[14:15]
	s_or_b64 s[16:17], vcc, s[16:17]
	s_waitcnt vmcnt(0)
	v_lshlrev_b32_e32 v2, 16, v2
	v_fmac_f32_e32 v3, v2, v2
	s_andn2_b64 exec, exec, s[16:17]
	s_cbranch_execnz .LBB20_3
; %bb.4:
	s_or_b64 exec, exec, s[16:17]
.LBB20_5:
	s_or_b64 exec, exec, s[12:13]
	s_sub_i32 s19, s3, s10
	s_ashr_i32 s12, s19, 31
	s_lshr_b32 s12, s12, 28
	s_add_i32 s12, s19, s12
	s_ashr_i32 s20, s12, 4
	s_ashr_i32 s11, s10, 31
	v_cmp_gt_i32_e32 vcc, s20, v0
	s_and_saveexec_b64 s[12:13], vcc
	s_cbranch_execz .LBB20_9
; %bb.6:
	s_lshl_b64 s[16:17], s[10:11], 1
	s_add_u32 s14, s4, s6
	s_addc_u32 s21, s5, s7
	s_add_u32 s16, s14, s16
	v_lshlrev_b32_e32 v4, 5, v0
	v_mov_b32_e32 v5, 0
	s_addc_u32 s17, s21, s17
	s_mov_b32 s15, 0
	v_lshl_add_u64 v[4:5], s[16:17], 0, v[4:5]
	s_lshl_b32 s14, s18, 5
	s_mov_b64 s[16:17], 0
	v_mov_b32_e32 v1, v0
.LBB20_7:                               ; =>This Inner Loop Header: Depth=1
	global_load_dwordx4 v[6:9], v[4:5], off
	global_load_dwordx4 v[10:13], v[4:5], off offset:16
	v_add_u32_e32 v1, s18, v1
	v_cmp_le_i32_e32 vcc, s20, v1
	v_lshl_add_u64 v[4:5], v[4:5], 0, s[14:15]
	s_or_b64 s[16:17], vcc, s[16:17]
	s_waitcnt vmcnt(1)
	v_lshlrev_b32_e32 v2, 16, v6
	v_and_b32_e32 v20, 0xffff0000, v6
	v_fmac_f32_e32 v3, v2, v2
	v_lshlrev_b32_e32 v21, 16, v7
	v_fmac_f32_e32 v3, v20, v20
	v_and_b32_e32 v22, 0xffff0000, v7
	v_and_b32_e32 v7, 0xffff0000, v8
	v_lshlrev_b32_e32 v6, 16, v8
	v_fmac_f32_e32 v3, v21, v21
	v_pk_mul_f32 v[6:7], v[6:7], v[6:7]
	v_fmac_f32_e32 v3, v22, v22
	v_and_b32_e32 v15, 0xffff0000, v9
	v_lshlrev_b32_e32 v14, 16, v9
	v_add_f32_e32 v2, v3, v6
	s_waitcnt vmcnt(0)
	v_and_b32_e32 v9, 0xffff0000, v10
	v_lshlrev_b32_e32 v8, 16, v10
	v_and_b32_e32 v17, 0xffff0000, v11
	v_lshlrev_b32_e32 v16, 16, v11
	v_and_b32_e32 v11, 0xffff0000, v12
	v_lshlrev_b32_e32 v10, 16, v12
	v_and_b32_e32 v19, 0xffff0000, v13
	v_lshlrev_b32_e32 v18, 16, v13
	v_pk_mul_f32 v[12:13], v[14:15], v[14:15]
	v_add_f32_e32 v2, v2, v7
	v_add_f32_e32 v2, v2, v12
	v_pk_mul_f32 v[8:9], v[8:9], v[8:9]
	v_add_f32_e32 v2, v2, v13
	v_add_f32_e32 v2, v2, v8
	v_pk_mul_f32 v[14:15], v[16:17], v[16:17]
	v_add_f32_e32 v2, v2, v9
	v_add_f32_e32 v2, v2, v14
	v_pk_mul_f32 v[10:11], v[10:11], v[10:11]
	v_add_f32_e32 v2, v2, v15
	v_add_f32_e32 v2, v2, v10
	v_pk_mul_f32 v[16:17], v[18:19], v[18:19]
	v_add_f32_e32 v2, v2, v11
	v_add_f32_e32 v2, v2, v16
	v_add_f32_e32 v3, v2, v17
	s_andn2_b64 exec, exec, s[16:17]
	s_cbranch_execnz .LBB20_7
; %bb.8:
	s_or_b64 exec, exec, s[16:17]
.LBB20_9:
	s_or_b64 exec, exec, s[12:13]
	v_lshl_add_u32 v4, s20, 4, v0
	v_cmp_gt_i32_e32 vcc, s19, v4
	s_and_saveexec_b64 s[12:13], vcc
	s_cbranch_execz .LBB20_13
; %bb.10:
	s_lshl_b64 s[10:11], s[10:11], 1
	s_add_u32 s14, s4, s6
	s_addc_u32 s15, s5, s7
	s_add_u32 s10, s14, s10
	v_ashrrev_i32_e32 v5, 31, v4
	s_addc_u32 s11, s15, s11
	v_lshl_add_u64 v[6:7], v[4:5], 1, s[10:11]
	s_lshl_b32 s10, s18, 1
	s_mov_b32 s11, 0
	s_mov_b64 s[14:15], 0
.LBB20_11:                              ; =>This Inner Loop Header: Depth=1
	global_load_ushort v1, v[6:7], off
	v_add_u32_e32 v4, s18, v4
	v_cmp_le_i32_e32 vcc, s19, v4
	v_lshl_add_u64 v[6:7], v[6:7], 0, s[10:11]
	s_or_b64 s[14:15], vcc, s[14:15]
	s_waitcnt vmcnt(0)
	v_lshlrev_b32_e32 v1, 16, v1
	v_fmac_f32_e32 v3, v1, v1
	s_andn2_b64 exec, exec, s[14:15]
	s_cbranch_execnz .LBB20_11
; %bb.12:
	s_or_b64 exec, exec, s[14:15]
.LBB20_13:
	s_or_b64 exec, exec, s[12:13]
	s_branch .LBB20_20
.LBB20_14:
                                        ; implicit-def: $vgpr3
	s_cbranch_execz .LBB20_20
; %bb.15:
	s_ashr_i32 s14, s3, 4
	v_cmp_gt_i32_e32 vcc, s14, v0
	v_mov_b32_e32 v3, 0
	s_and_saveexec_b64 s[10:11], vcc
	s_cbranch_execz .LBB20_19
; %bb.16:
	s_add_u32 s4, s4, s6
	v_lshlrev_b32_e32 v2, 5, v0
	v_mov_b32_e32 v3, 0
	s_addc_u32 s5, s5, s7
	s_mov_b32 s13, 0
	v_lshl_add_u64 v[4:5], s[4:5], 0, v[2:3]
	s_lshl_b32 s12, s18, 5
	s_mov_b64 s[4:5], 0
	v_mov_b32_e32 v1, v0
.LBB20_17:                              ; =>This Inner Loop Header: Depth=1
	global_load_dwordx4 v[6:9], v[4:5], off
	global_load_dwordx4 v[10:13], v[4:5], off offset:16
	v_add_u32_e32 v1, s18, v1
	v_cmp_le_i32_e32 vcc, s14, v1
	v_lshl_add_u64 v[4:5], v[4:5], 0, s[12:13]
	s_or_b64 s[4:5], vcc, s[4:5]
	s_waitcnt vmcnt(1)
	v_lshlrev_b32_e32 v2, 16, v6
	v_and_b32_e32 v20, 0xffff0000, v6
	v_fmac_f32_e32 v3, v2, v2
	v_lshlrev_b32_e32 v21, 16, v7
	v_fmac_f32_e32 v3, v20, v20
	v_and_b32_e32 v22, 0xffff0000, v7
	v_and_b32_e32 v7, 0xffff0000, v8
	v_lshlrev_b32_e32 v6, 16, v8
	v_fmac_f32_e32 v3, v21, v21
	v_pk_mul_f32 v[6:7], v[6:7], v[6:7]
	v_fmac_f32_e32 v3, v22, v22
	v_and_b32_e32 v15, 0xffff0000, v9
	v_lshlrev_b32_e32 v14, 16, v9
	v_add_f32_e32 v2, v6, v3
	s_waitcnt vmcnt(0)
	v_and_b32_e32 v9, 0xffff0000, v10
	v_lshlrev_b32_e32 v8, 16, v10
	v_and_b32_e32 v17, 0xffff0000, v11
	v_lshlrev_b32_e32 v16, 16, v11
	;; [unrolled: 2-line block ×4, first 2 shown]
	v_pk_mul_f32 v[12:13], v[14:15], v[14:15]
	v_add_f32_e32 v2, v7, v2
	v_add_f32_e32 v2, v12, v2
	v_pk_mul_f32 v[8:9], v[8:9], v[8:9]
	v_add_f32_e32 v2, v13, v2
	v_add_f32_e32 v2, v8, v2
	;; [unrolled: 3-line block ×5, first 2 shown]
	v_add_f32_e32 v3, v17, v2
	s_andn2_b64 exec, exec, s[4:5]
	s_cbranch_execnz .LBB20_17
; %bb.18:
	s_or_b64 exec, exec, s[4:5]
.LBB20_19:
	s_or_b64 exec, exec, s[10:11]
.LBB20_20:
	v_mbcnt_lo_u32_b32 v1, -1, 0
	v_mbcnt_hi_u32_b32 v1, -1, v1
	v_and_b32_e32 v2, 63, v1
	v_cmp_ne_u32_e32 vcc, 63, v2
	v_and_b32_e32 v5, 0x3c0, v0
	v_sub_u32_e64 v5, s18, v5 clamp
	v_addc_co_u32_e32 v4, vcc, 0, v1, vcc
	v_lshlrev_b32_e32 v4, 2, v4
	ds_bpermute_b32 v4, v4, v3
	v_add_u32_e32 v6, 1, v1
	v_cmp_lt_u32_e32 vcc, v6, v5
	v_add_u32_e32 v6, 2, v1
	s_waitcnt lgkmcnt(0)
	v_add_f32_e32 v4, v3, v4
	v_cndmask_b32_e32 v3, v3, v4, vcc
	v_cmp_gt_u32_e32 vcc, 62, v2
	s_nop 1
	v_cndmask_b32_e64 v4, 0, 1, vcc
	v_lshlrev_b32_e32 v4, 1, v4
	v_add_lshl_u32 v4, v4, v1, 2
	ds_bpermute_b32 v4, v4, v3
	v_cmp_lt_u32_e32 vcc, v6, v5
	v_add_u32_e32 v6, 4, v1
	s_waitcnt lgkmcnt(0)
	v_add_f32_e32 v4, v3, v4
	v_cndmask_b32_e32 v3, v3, v4, vcc
	v_cmp_gt_u32_e32 vcc, 60, v2
	s_nop 1
	v_cndmask_b32_e64 v4, 0, 1, vcc
	v_lshlrev_b32_e32 v4, 2, v4
	v_add_lshl_u32 v4, v4, v1, 2
	ds_bpermute_b32 v4, v4, v3
	;; [unrolled: 11-line block ×4, first 2 shown]
	v_cmp_lt_u32_e32 vcc, v6, v5
	s_waitcnt lgkmcnt(0)
	v_add_f32_e32 v4, v3, v4
	v_cndmask_b32_e32 v3, v3, v4, vcc
	v_cmp_gt_u32_e32 vcc, 32, v2
	v_add_u32_e32 v4, 32, v1
	s_nop 0
	v_cndmask_b32_e64 v2, 0, 1, vcc
	v_lshlrev_b32_e32 v2, 5, v2
	v_add_lshl_u32 v2, v2, v1, 2
	ds_bpermute_b32 v2, v2, v3
	v_cmp_lt_u32_e32 vcc, v4, v5
	s_waitcnt lgkmcnt(0)
	v_add_f32_e32 v2, v3, v2
	v_cndmask_b32_e32 v2, v3, v2, vcc
	v_cmp_eq_u32_e32 vcc, 0, v1
	s_and_saveexec_b64 s[4:5], vcc
	s_cbranch_execz .LBB20_22
; %bb.21:
	v_lshrrev_b32_e32 v3, 4, v0
	v_and_b32_e32 v3, 60, v3
	ds_write_b32 v3, v2
.LBB20_22:
	s_or_b64 exec, exec, s[4:5]
	v_cmp_gt_u32_e32 vcc, 16, v0
	s_waitcnt lgkmcnt(0)
	s_barrier
	s_and_saveexec_b64 s[6:7], vcc
	s_cbranch_execz .LBB20_24
; %bb.23:
	v_lshlrev_b32_e32 v2, 2, v1
	ds_read_b32 v2, v2
	v_and_b32_e32 v3, 15, v1
	v_cmp_ne_u32_e32 vcc, 15, v3
	s_add_i32 s4, s18, 63
	s_lshr_b32 s10, s4, 6
	v_addc_co_u32_e32 v4, vcc, 0, v1, vcc
	v_lshlrev_b32_e32 v4, 2, v4
	s_waitcnt lgkmcnt(0)
	ds_bpermute_b32 v4, v4, v2
	v_add_u32_e32 v5, 1, v3
	v_cmp_gt_u32_e64 s[4:5], 14, v3
	v_cmp_gt_u32_e32 vcc, s10, v5
	v_add_u32_e32 v6, 2, v3
	v_cndmask_b32_e64 v5, 0, 1, s[4:5]
	s_waitcnt lgkmcnt(0)
	v_add_f32_e32 v4, v2, v4
	v_lshlrev_b32_e32 v5, 1, v5
	v_cndmask_b32_e32 v4, v2, v4, vcc
	v_add_lshl_u32 v5, v5, v1, 2
	ds_bpermute_b32 v5, v5, v4
	v_cmp_gt_u32_e64 s[4:5], s10, v6
	v_add_u32_e32 v6, 4, v3
	s_waitcnt lgkmcnt(0)
	v_add_f32_e32 v5, v4, v5
	v_cndmask_b32_e64 v4, v4, v5, s[4:5]
	v_cmp_gt_u32_e64 s[4:5], 12, v3
	s_nop 1
	v_cndmask_b32_e64 v5, 0, 1, s[4:5]
	v_lshlrev_b32_e32 v5, 2, v5
	v_add_lshl_u32 v5, v5, v1, 2
	ds_bpermute_b32 v5, v5, v4
	v_cmp_gt_u32_e64 s[4:5], s10, v6
	s_waitcnt lgkmcnt(0)
	v_add_f32_e32 v5, v4, v5
	v_cndmask_b32_e64 v4, v4, v5, s[4:5]
	v_cmp_gt_u32_e64 s[4:5], 8, v3
	v_add_u32_e32 v3, 8, v3
	s_nop 0
	v_cndmask_b32_e64 v5, 0, 1, s[4:5]
	v_lshlrev_b32_e32 v5, 3, v5
	v_add_lshl_u32 v1, v5, v1, 2
	ds_bpermute_b32 v1, v1, v4
	v_cmp_gt_u32_e64 s[4:5], s10, v3
	s_waitcnt lgkmcnt(0)
	v_add_f32_e32 v1, v4, v1
	v_cndmask_b32_e64 v1, v4, v1, s[4:5]
	v_cndmask_b32_e32 v2, v2, v1, vcc
.LBB20_24:
	s_or_b64 exec, exec, s[6:7]
	v_cmp_eq_u32_e32 vcc, 0, v0
	s_and_saveexec_b64 s[4:5], vcc
	s_cbranch_execz .LBB20_26
; %bb.25:
	v_cvt_f32_i32_e32 v1, s3
	s_load_dword s10, s[0:1], 0x28
	v_div_scale_f32 v3, s[6:7], v1, v1, v2
	v_rcp_f32_e32 v4, v3
	v_div_scale_f32 v5, vcc, v2, v1, v2
	s_mov_b32 s6, 0x800000
	v_fma_f32 v6, -v3, v4, 1.0
	v_fmac_f32_e32 v4, v6, v4
	v_mul_f32_e32 v6, v5, v4
	v_fma_f32 v7, -v3, v6, v5
	v_fmac_f32_e32 v6, v7, v4
	v_fma_f32 v3, -v3, v6, v5
	v_div_fmas_f32 v3, v3, v4, v6
	v_div_fixup_f32 v1, v3, v1, v2
	s_waitcnt lgkmcnt(0)
	v_add_f32_e32 v1, s10, v1
	v_mul_f32_e32 v2, 0x4b800000, v1
	v_cmp_gt_f32_e32 vcc, s6, v1
	s_nop 1
	v_cndmask_b32_e32 v1, v1, v2, vcc
	v_rsq_f32_e32 v1, v1
	s_nop 0
	v_mul_f32_e32 v2, 0x45800000, v1
	v_cndmask_b32_e32 v1, v1, v2, vcc
	v_mov_b32_e32 v2, 0
	ds_write_b32 v2, v1 offset:64
.LBB20_26:
	s_or_b64 exec, exec, s[4:5]
	s_ashr_i32 s4, s3, 31
	s_lshr_b32 s4, s4, 28
	s_add_i32 s4, s3, s4
	s_ashr_i32 s12, s4, 4
	v_cmp_gt_i32_e32 vcc, s12, v0
	s_waitcnt lgkmcnt(0)
	s_barrier
	s_and_saveexec_b64 s[4:5], vcc
	s_cbranch_execz .LBB20_125
; %bb.27:
	s_load_dwordx4 s[4:7], s[0:1], 0x18
	s_load_dwordx2 s[10:11], s[0:1], 0x0
	s_mul_i32 s2, s2, s3
	v_mov_b32_e32 v19, 0
	ds_read_b32 v1, v19 offset:64
	s_waitcnt lgkmcnt(0)
	s_load_dword s3, s[6:7], 0x0
	s_lshl_b32 s13, s18, 4
	v_lshlrev_b32_e32 v18, 5, v0
	v_lshl_add_u32 v20, v0, 4, s2
	s_lshl_b32 s14, s18, 5
	s_waitcnt lgkmcnt(0)
	v_div_scale_f32 v2, s[0:1], s3, s3, 1.0
	v_rcp_f32_e32 v3, v2
	v_div_scale_f32 v4, vcc, 1.0, s3, 1.0
	s_mov_b64 s[0:1], 0
	v_fma_f32 v5, -v2, v3, 1.0
	v_fmac_f32_e32 v3, v5, v3
	v_mul_f32_e32 v5, v4, v3
	v_fma_f32 v6, -v2, v5, v4
	v_fmac_f32_e32 v5, v6, v3
	v_fma_f32 v2, -v2, v5, v4
	v_div_fmas_f32 v2, v2, v3, v5
	v_div_fixup_f32 v21, v2, s3, 1.0
	s_movk_i32 s15, 0x7fff
	v_mov_b32_e32 v22, 0x7fc00000
	s_mov_b32 s16, 0x43f00000
	s_mov_b32 s17, 0x3c7fffff
	;; [unrolled: 1-line block ×4, first 2 shown]
	s_movk_i32 s21, 0x80
	s_branch .LBB20_30
.LBB20_28:                              ;   in Loop: Header=BB20_30 Depth=1
	s_or_b64 exec, exec, s[6:7]
.LBB20_29:                              ;   in Loop: Header=BB20_30 Depth=1
	s_or_b64 exec, exec, s[2:3]
	s_add_u32 s4, s4, s14
	s_addc_u32 s5, s5, 0
	v_add_u32_e32 v0, s18, v0
	s_add_u32 s8, s8, s14
	v_lshrrev_b32_e32 v3, 24, v3
	s_addc_u32 s9, s9, 0
	v_cmp_le_i32_e32 vcc, s12, v0
	v_and_or_b32 v2, v3, s21, v2
	v_add_u32_e32 v3, 15, v20
	s_or_b64 s[0:1], vcc, s[0:1]
	v_add_u32_e32 v20, s13, v20
	global_store_byte v3, v2, s[10:11]
	s_andn2_b64 exec, exec, s[0:1]
	s_cbranch_execz .LBB20_125
.LBB20_30:                              ; =>This Inner Loop Header: Depth=1
	v_lshl_add_u64 v[24:25], s[8:9], 0, v[18:19]
	v_lshl_add_u64 v[26:27], s[4:5], 0, v[18:19]
	global_load_dwordx4 v[14:17], v[24:25], off
	global_load_dwordx4 v[10:13], v[26:27], off
	global_load_dwordx4 v[6:9], v[24:25], off offset:16
	global_load_dwordx4 v[2:5], v[26:27], off offset:16
	v_mov_b32_e32 v23, 0x7f
	s_waitcnt vmcnt(3)
	v_lshlrev_b32_e32 v24, 16, v14
	v_mul_f32_e32 v24, v1, v24
	v_bfe_u32 v26, v24, 16, 1
	v_add3_u32 v26, v24, v26, s15
	v_and_b32_e32 v26, 0xffff0000, v26
	v_cmp_o_f32_e32 vcc, v24, v24
	s_waitcnt vmcnt(2)
	v_lshlrev_b32_e32 v25, 16, v10
	v_cndmask_b32_e32 v24, v22, v26, vcc
	v_mul_f32_e32 v24, v24, v25
	v_bfe_u32 v25, v24, 16, 1
	v_add3_u32 v25, v24, v25, s15
	v_and_b32_e32 v25, 0xffff0000, v25
	v_cmp_o_f32_e32 vcc, v24, v24
	s_nop 1
	v_cndmask_b32_e32 v24, v22, v25, vcc
	v_mul_f32_e32 v24, v21, v24
	v_min_f32_e32 v24, 0x43e00000, v24
	v_max_f32_e32 v24, 0xc3e00000, v24
	v_and_b32_e32 v26, 0x7fffffff, v24
	v_cmp_gt_u32_e32 vcc, s16, v26
	v_mov_b32_e32 v25, 0x7f
	s_and_saveexec_b64 s[2:3], vcc
	s_cbranch_execz .LBB20_36
; %bb.31:                               ;   in Loop: Header=BB20_30 Depth=1
	v_cmp_lt_u32_e32 vcc, s17, v26
                                        ; implicit-def: $vgpr25
	s_and_saveexec_b64 s[6:7], vcc
	s_xor_b64 s[6:7], exec, s[6:7]
; %bb.32:                               ;   in Loop: Header=BB20_30 Depth=1
	v_bfe_u32 v25, v24, 20, 1
	v_add3_u32 v25, v24, v25, s19
	v_lshrrev_b32_e32 v25, 20, v25
; %bb.33:                               ;   in Loop: Header=BB20_30 Depth=1
	s_andn2_saveexec_b64 s[6:7], s[6:7]
; %bb.34:                               ;   in Loop: Header=BB20_30 Depth=1
	v_add_f32_e64 v25, |v24|, s20
; %bb.35:                               ;   in Loop: Header=BB20_30 Depth=1
	s_or_b64 exec, exec, s[6:7]
.LBB20_36:                              ;   in Loop: Header=BB20_30 Depth=1
	s_or_b64 exec, exec, s[2:3]
	v_lshrrev_b32_e32 v24, 24, v24
	v_and_b32_e32 v14, 0xffff0000, v14
	v_and_or_b32 v24, v24, s21, v25
	v_mul_f32_e32 v14, v1, v14
	global_store_byte v20, v24, s[10:11]
	v_bfe_u32 v24, v14, 16, 1
	v_add3_u32 v24, v14, v24, s15
	v_and_b32_e32 v24, 0xffff0000, v24
	v_cmp_o_f32_e32 vcc, v14, v14
	v_and_b32_e32 v10, 0xffff0000, v10
	s_nop 0
	v_cndmask_b32_e32 v14, v22, v24, vcc
	v_mul_f32_e32 v10, v14, v10
	v_bfe_u32 v14, v10, 16, 1
	v_add3_u32 v14, v10, v14, s15
	v_and_b32_e32 v14, 0xffff0000, v14
	v_cmp_o_f32_e32 vcc, v10, v10
	s_nop 1
	v_cndmask_b32_e32 v10, v22, v14, vcc
	v_mul_f32_e32 v10, v21, v10
	v_min_f32_e32 v10, 0x43e00000, v10
	v_max_f32_e32 v10, 0xc3e00000, v10
	v_and_b32_e32 v14, 0x7fffffff, v10
	v_cmp_gt_u32_e32 vcc, s16, v14
	s_and_saveexec_b64 s[2:3], vcc
	s_cbranch_execz .LBB20_42
; %bb.37:                               ;   in Loop: Header=BB20_30 Depth=1
	v_cmp_lt_u32_e32 vcc, s17, v14
                                        ; implicit-def: $vgpr23
	s_and_saveexec_b64 s[6:7], vcc
	s_xor_b64 s[6:7], exec, s[6:7]
; %bb.38:                               ;   in Loop: Header=BB20_30 Depth=1
	v_bfe_u32 v14, v10, 20, 1
	v_add3_u32 v14, v10, v14, s19
	v_lshrrev_b32_e32 v23, 20, v14
; %bb.39:                               ;   in Loop: Header=BB20_30 Depth=1
	s_andn2_saveexec_b64 s[6:7], s[6:7]
; %bb.40:                               ;   in Loop: Header=BB20_30 Depth=1
	v_add_f32_e64 v23, |v10|, s20
; %bb.41:                               ;   in Loop: Header=BB20_30 Depth=1
	s_or_b64 exec, exec, s[6:7]
.LBB20_42:                              ;   in Loop: Header=BB20_30 Depth=1
	s_or_b64 exec, exec, s[2:3]
	v_lshrrev_b32_e32 v10, 24, v10
	v_and_or_b32 v10, v10, s21, v23
	v_add_u32_e32 v14, 1, v20
	global_store_byte v14, v10, s[10:11]
	v_lshlrev_b32_e32 v10, 16, v15
	v_mul_f32_e32 v10, v1, v10
	v_bfe_u32 v14, v10, 16, 1
	v_add3_u32 v14, v10, v14, s15
	v_and_b32_e32 v14, 0xffff0000, v14
	v_cmp_o_f32_e32 vcc, v10, v10
	v_mov_b32_e32 v23, 0x7f
	s_nop 0
	v_cndmask_b32_e32 v10, v22, v14, vcc
	v_lshlrev_b32_e32 v14, 16, v11
	v_mul_f32_e32 v10, v10, v14
	v_bfe_u32 v14, v10, 16, 1
	v_add3_u32 v14, v10, v14, s15
	v_and_b32_e32 v14, 0xffff0000, v14
	v_cmp_o_f32_e32 vcc, v10, v10
	s_nop 1
	v_cndmask_b32_e32 v10, v22, v14, vcc
	v_mul_f32_e32 v10, v21, v10
	v_min_f32_e32 v10, 0x43e00000, v10
	v_max_f32_e32 v14, 0xc3e00000, v10
	v_and_b32_e32 v24, 0x7fffffff, v14
	v_cmp_gt_u32_e32 vcc, s16, v24
	v_mov_b32_e32 v10, 0x7f
	s_and_saveexec_b64 s[2:3], vcc
	s_cbranch_execz .LBB20_48
; %bb.43:                               ;   in Loop: Header=BB20_30 Depth=1
	v_cmp_lt_u32_e32 vcc, s17, v24
                                        ; implicit-def: $vgpr23
	s_and_saveexec_b64 s[6:7], vcc
	s_xor_b64 s[6:7], exec, s[6:7]
; %bb.44:                               ;   in Loop: Header=BB20_30 Depth=1
	v_bfe_u32 v23, v14, 20, 1
	v_add3_u32 v23, v14, v23, s19
	v_lshrrev_b32_e32 v23, 20, v23
; %bb.45:                               ;   in Loop: Header=BB20_30 Depth=1
	s_andn2_saveexec_b64 s[6:7], s[6:7]
; %bb.46:                               ;   in Loop: Header=BB20_30 Depth=1
	v_add_f32_e64 v23, |v14|, s20
; %bb.47:                               ;   in Loop: Header=BB20_30 Depth=1
	s_or_b64 exec, exec, s[6:7]
.LBB20_48:                              ;   in Loop: Header=BB20_30 Depth=1
	s_or_b64 exec, exec, s[2:3]
	v_lshrrev_b32_e32 v14, 24, v14
	v_and_or_b32 v14, v14, s21, v23
	v_add_u32_e32 v23, 2, v20
	global_store_byte v23, v14, s[10:11]
	v_and_b32_e32 v14, 0xffff0000, v15
	v_mul_f32_e32 v14, v1, v14
	v_bfe_u32 v15, v14, 16, 1
	v_add3_u32 v15, v14, v15, s15
	v_and_b32_e32 v15, 0xffff0000, v15
	v_cmp_o_f32_e32 vcc, v14, v14
	v_and_b32_e32 v11, 0xffff0000, v11
	s_nop 0
	v_cndmask_b32_e32 v14, v22, v15, vcc
	v_mul_f32_e32 v11, v14, v11
	v_bfe_u32 v14, v11, 16, 1
	v_add3_u32 v14, v11, v14, s15
	v_and_b32_e32 v14, 0xffff0000, v14
	v_cmp_o_f32_e32 vcc, v11, v11
	s_nop 1
	v_cndmask_b32_e32 v11, v22, v14, vcc
	v_mul_f32_e32 v11, v21, v11
	v_min_f32_e32 v11, 0x43e00000, v11
	v_max_f32_e32 v11, 0xc3e00000, v11
	v_and_b32_e32 v14, 0x7fffffff, v11
	v_cmp_gt_u32_e32 vcc, s16, v14
	s_and_saveexec_b64 s[2:3], vcc
	s_cbranch_execz .LBB20_54
; %bb.49:                               ;   in Loop: Header=BB20_30 Depth=1
	v_cmp_lt_u32_e32 vcc, s17, v14
                                        ; implicit-def: $vgpr10
	s_and_saveexec_b64 s[6:7], vcc
	s_xor_b64 s[6:7], exec, s[6:7]
; %bb.50:                               ;   in Loop: Header=BB20_30 Depth=1
	v_bfe_u32 v10, v11, 20, 1
	v_add3_u32 v10, v11, v10, s19
	v_lshrrev_b32_e32 v10, 20, v10
; %bb.51:                               ;   in Loop: Header=BB20_30 Depth=1
	s_andn2_saveexec_b64 s[6:7], s[6:7]
; %bb.52:                               ;   in Loop: Header=BB20_30 Depth=1
	v_add_f32_e64 v10, |v11|, s20
; %bb.53:                               ;   in Loop: Header=BB20_30 Depth=1
	s_or_b64 exec, exec, s[6:7]
.LBB20_54:                              ;   in Loop: Header=BB20_30 Depth=1
	s_or_b64 exec, exec, s[2:3]
	v_lshrrev_b32_e32 v11, 24, v11
	v_and_or_b32 v10, v11, s21, v10
	v_add_u32_e32 v11, 3, v20
	global_store_byte v11, v10, s[10:11]
	v_lshlrev_b32_e32 v10, 16, v16
	v_mul_f32_e32 v10, v1, v10
	v_bfe_u32 v11, v10, 16, 1
	v_add3_u32 v11, v10, v11, s15
	v_and_b32_e32 v11, 0xffff0000, v11
	v_cmp_o_f32_e32 vcc, v10, v10
	v_mov_b32_e32 v14, 0x7f
	s_nop 0
	v_cndmask_b32_e32 v10, v22, v11, vcc
	v_lshlrev_b32_e32 v11, 16, v12
	v_mul_f32_e32 v10, v10, v11
	v_bfe_u32 v11, v10, 16, 1
	v_add3_u32 v11, v10, v11, s15
	v_and_b32_e32 v11, 0xffff0000, v11
	v_cmp_o_f32_e32 vcc, v10, v10
	s_nop 1
	v_cndmask_b32_e32 v10, v22, v11, vcc
	v_mul_f32_e32 v10, v21, v10
	v_min_f32_e32 v10, 0x43e00000, v10
	v_max_f32_e32 v11, 0xc3e00000, v10
	v_and_b32_e32 v15, 0x7fffffff, v11
	v_cmp_gt_u32_e32 vcc, s16, v15
	v_mov_b32_e32 v10, 0x7f
	s_and_saveexec_b64 s[2:3], vcc
	s_cbranch_execz .LBB20_60
; %bb.55:                               ;   in Loop: Header=BB20_30 Depth=1
	v_cmp_lt_u32_e32 vcc, s17, v15
                                        ; implicit-def: $vgpr14
	s_and_saveexec_b64 s[6:7], vcc
	s_xor_b64 s[6:7], exec, s[6:7]
; %bb.56:                               ;   in Loop: Header=BB20_30 Depth=1
	v_bfe_u32 v14, v11, 20, 1
	v_add3_u32 v14, v11, v14, s19
	v_lshrrev_b32_e32 v14, 20, v14
; %bb.57:                               ;   in Loop: Header=BB20_30 Depth=1
	s_andn2_saveexec_b64 s[6:7], s[6:7]
; %bb.58:                               ;   in Loop: Header=BB20_30 Depth=1
	v_add_f32_e64 v14, |v11|, s20
; %bb.59:                               ;   in Loop: Header=BB20_30 Depth=1
	s_or_b64 exec, exec, s[6:7]
.LBB20_60:                              ;   in Loop: Header=BB20_30 Depth=1
	s_or_b64 exec, exec, s[2:3]
	v_lshrrev_b32_e32 v11, 24, v11
	v_and_or_b32 v11, v11, s21, v14
	v_add_u32_e32 v14, 4, v20
	global_store_byte v14, v11, s[10:11]
	v_and_b32_e32 v11, 0xffff0000, v16
	v_mul_f32_e32 v11, v1, v11
	v_bfe_u32 v14, v11, 16, 1
	v_add3_u32 v14, v11, v14, s15
	v_and_b32_e32 v14, 0xffff0000, v14
	v_cmp_o_f32_e32 vcc, v11, v11
	v_and_b32_e32 v12, 0xffff0000, v12
	s_nop 0
	v_cndmask_b32_e32 v11, v22, v14, vcc
	v_mul_f32_e32 v11, v11, v12
	v_bfe_u32 v12, v11, 16, 1
	v_add3_u32 v12, v11, v12, s15
	v_and_b32_e32 v12, 0xffff0000, v12
	v_cmp_o_f32_e32 vcc, v11, v11
	s_nop 1
	v_cndmask_b32_e32 v11, v22, v12, vcc
	v_mul_f32_e32 v11, v21, v11
	v_min_f32_e32 v11, 0x43e00000, v11
	v_max_f32_e32 v11, 0xc3e00000, v11
	v_and_b32_e32 v12, 0x7fffffff, v11
	v_cmp_gt_u32_e32 vcc, s16, v12
	s_and_saveexec_b64 s[2:3], vcc
	s_cbranch_execz .LBB20_66
; %bb.61:                               ;   in Loop: Header=BB20_30 Depth=1
	v_cmp_lt_u32_e32 vcc, s17, v12
                                        ; implicit-def: $vgpr10
	s_and_saveexec_b64 s[6:7], vcc
	s_xor_b64 s[6:7], exec, s[6:7]
; %bb.62:                               ;   in Loop: Header=BB20_30 Depth=1
	v_bfe_u32 v10, v11, 20, 1
	v_add3_u32 v10, v11, v10, s19
	v_lshrrev_b32_e32 v10, 20, v10
; %bb.63:                               ;   in Loop: Header=BB20_30 Depth=1
	s_andn2_saveexec_b64 s[6:7], s[6:7]
; %bb.64:                               ;   in Loop: Header=BB20_30 Depth=1
	v_add_f32_e64 v10, |v11|, s20
; %bb.65:                               ;   in Loop: Header=BB20_30 Depth=1
	s_or_b64 exec, exec, s[6:7]
.LBB20_66:                              ;   in Loop: Header=BB20_30 Depth=1
	s_or_b64 exec, exec, s[2:3]
	v_lshrrev_b32_e32 v11, 24, v11
	v_and_or_b32 v10, v11, s21, v10
	v_add_u32_e32 v11, 5, v20
	global_store_byte v11, v10, s[10:11]
	v_lshlrev_b32_e32 v10, 16, v17
	v_mul_f32_e32 v10, v1, v10
	v_bfe_u32 v11, v10, 16, 1
	v_add3_u32 v11, v10, v11, s15
	v_and_b32_e32 v11, 0xffff0000, v11
	v_cmp_o_f32_e32 vcc, v10, v10
	v_mov_b32_e32 v12, 0x7f
	s_nop 0
	v_cndmask_b32_e32 v10, v22, v11, vcc
	v_lshlrev_b32_e32 v11, 16, v13
	v_mul_f32_e32 v10, v10, v11
	v_bfe_u32 v11, v10, 16, 1
	v_add3_u32 v11, v10, v11, s15
	v_and_b32_e32 v11, 0xffff0000, v11
	v_cmp_o_f32_e32 vcc, v10, v10
	s_nop 1
	v_cndmask_b32_e32 v10, v22, v11, vcc
	v_mul_f32_e32 v10, v21, v10
	v_min_f32_e32 v10, 0x43e00000, v10
	v_max_f32_e32 v11, 0xc3e00000, v10
	v_and_b32_e32 v14, 0x7fffffff, v11
	v_cmp_gt_u32_e32 vcc, s16, v14
	v_mov_b32_e32 v10, 0x7f
	s_and_saveexec_b64 s[2:3], vcc
	s_cbranch_execz .LBB20_72
; %bb.67:                               ;   in Loop: Header=BB20_30 Depth=1
	v_cmp_lt_u32_e32 vcc, s17, v14
                                        ; implicit-def: $vgpr12
	s_and_saveexec_b64 s[6:7], vcc
	s_xor_b64 s[6:7], exec, s[6:7]
; %bb.68:                               ;   in Loop: Header=BB20_30 Depth=1
	v_bfe_u32 v12, v11, 20, 1
	v_add3_u32 v12, v11, v12, s19
	v_lshrrev_b32_e32 v12, 20, v12
; %bb.69:                               ;   in Loop: Header=BB20_30 Depth=1
	s_andn2_saveexec_b64 s[6:7], s[6:7]
; %bb.70:                               ;   in Loop: Header=BB20_30 Depth=1
	v_add_f32_e64 v12, |v11|, s20
; %bb.71:                               ;   in Loop: Header=BB20_30 Depth=1
	s_or_b64 exec, exec, s[6:7]
.LBB20_72:                              ;   in Loop: Header=BB20_30 Depth=1
	s_or_b64 exec, exec, s[2:3]
	v_lshrrev_b32_e32 v11, 24, v11
	v_and_or_b32 v11, v11, s21, v12
	v_add_u32_e32 v12, 6, v20
	global_store_byte v12, v11, s[10:11]
	v_and_b32_e32 v11, 0xffff0000, v17
	v_mul_f32_e32 v11, v1, v11
	v_bfe_u32 v12, v11, 16, 1
	v_add3_u32 v12, v11, v12, s15
	v_and_b32_e32 v12, 0xffff0000, v12
	v_cmp_o_f32_e32 vcc, v11, v11
	s_nop 1
	v_cndmask_b32_e32 v11, v22, v12, vcc
	v_and_b32_e32 v12, 0xffff0000, v13
	v_mul_f32_e32 v11, v11, v12
	v_bfe_u32 v12, v11, 16, 1
	v_add3_u32 v12, v11, v12, s15
	v_and_b32_e32 v12, 0xffff0000, v12
	v_cmp_o_f32_e32 vcc, v11, v11
	s_nop 1
	v_cndmask_b32_e32 v11, v22, v12, vcc
	v_mul_f32_e32 v11, v21, v11
	v_min_f32_e32 v11, 0x43e00000, v11
	v_max_f32_e32 v11, 0xc3e00000, v11
	v_and_b32_e32 v12, 0x7fffffff, v11
	v_cmp_gt_u32_e32 vcc, s16, v12
	s_and_saveexec_b64 s[2:3], vcc
	s_cbranch_execz .LBB20_78
; %bb.73:                               ;   in Loop: Header=BB20_30 Depth=1
	v_cmp_lt_u32_e32 vcc, s17, v12
                                        ; implicit-def: $vgpr10
	s_and_saveexec_b64 s[6:7], vcc
	s_xor_b64 s[6:7], exec, s[6:7]
; %bb.74:                               ;   in Loop: Header=BB20_30 Depth=1
	v_bfe_u32 v10, v11, 20, 1
	v_add3_u32 v10, v11, v10, s19
	v_lshrrev_b32_e32 v10, 20, v10
; %bb.75:                               ;   in Loop: Header=BB20_30 Depth=1
	s_andn2_saveexec_b64 s[6:7], s[6:7]
; %bb.76:                               ;   in Loop: Header=BB20_30 Depth=1
	v_add_f32_e64 v10, |v11|, s20
; %bb.77:                               ;   in Loop: Header=BB20_30 Depth=1
	s_or_b64 exec, exec, s[6:7]
.LBB20_78:                              ;   in Loop: Header=BB20_30 Depth=1
	s_or_b64 exec, exec, s[2:3]
	v_lshrrev_b32_e32 v11, 24, v11
	v_and_or_b32 v10, v11, s21, v10
	v_add_u32_e32 v11, 7, v20
	global_store_byte v11, v10, s[10:11]
	s_waitcnt vmcnt(9)
	v_lshlrev_b32_e32 v10, 16, v6
	v_mul_f32_e32 v10, v1, v10
	v_bfe_u32 v11, v10, 16, 1
	v_add3_u32 v11, v10, v11, s15
	v_and_b32_e32 v11, 0xffff0000, v11
	v_cmp_o_f32_e32 vcc, v10, v10
	v_mov_b32_e32 v12, 0x7f
	s_nop 0
	v_cndmask_b32_e32 v10, v22, v11, vcc
	s_waitcnt vmcnt(8)
	v_lshlrev_b32_e32 v11, 16, v2
	v_mul_f32_e32 v10, v10, v11
	v_bfe_u32 v11, v10, 16, 1
	v_add3_u32 v11, v10, v11, s15
	v_and_b32_e32 v11, 0xffff0000, v11
	v_cmp_o_f32_e32 vcc, v10, v10
	s_nop 1
	v_cndmask_b32_e32 v10, v22, v11, vcc
	v_mul_f32_e32 v10, v21, v10
	v_min_f32_e32 v10, 0x43e00000, v10
	v_max_f32_e32 v11, 0xc3e00000, v10
	v_and_b32_e32 v13, 0x7fffffff, v11
	v_cmp_gt_u32_e32 vcc, s16, v13
	v_mov_b32_e32 v10, 0x7f
	s_and_saveexec_b64 s[2:3], vcc
	s_cbranch_execz .LBB20_84
; %bb.79:                               ;   in Loop: Header=BB20_30 Depth=1
	v_cmp_lt_u32_e32 vcc, s17, v13
                                        ; implicit-def: $vgpr12
	s_and_saveexec_b64 s[6:7], vcc
	s_xor_b64 s[6:7], exec, s[6:7]
; %bb.80:                               ;   in Loop: Header=BB20_30 Depth=1
	v_bfe_u32 v12, v11, 20, 1
	v_add3_u32 v12, v11, v12, s19
	v_lshrrev_b32_e32 v12, 20, v12
; %bb.81:                               ;   in Loop: Header=BB20_30 Depth=1
	s_andn2_saveexec_b64 s[6:7], s[6:7]
; %bb.82:                               ;   in Loop: Header=BB20_30 Depth=1
	v_add_f32_e64 v12, |v11|, s20
; %bb.83:                               ;   in Loop: Header=BB20_30 Depth=1
	s_or_b64 exec, exec, s[6:7]
.LBB20_84:                              ;   in Loop: Header=BB20_30 Depth=1
	s_or_b64 exec, exec, s[2:3]
	v_lshrrev_b32_e32 v11, 24, v11
	v_and_b32_e32 v6, 0xffff0000, v6
	v_and_or_b32 v11, v11, s21, v12
	v_add_u32_e32 v12, 8, v20
	v_mul_f32_e32 v6, v1, v6
	global_store_byte v12, v11, s[10:11]
	v_bfe_u32 v11, v6, 16, 1
	v_add3_u32 v11, v6, v11, s15
	v_and_b32_e32 v11, 0xffff0000, v11
	v_cmp_o_f32_e32 vcc, v6, v6
	v_and_b32_e32 v2, 0xffff0000, v2
	s_nop 0
	v_cndmask_b32_e32 v6, v22, v11, vcc
	v_mul_f32_e32 v2, v6, v2
	v_bfe_u32 v6, v2, 16, 1
	v_add3_u32 v6, v2, v6, s15
	v_and_b32_e32 v6, 0xffff0000, v6
	v_cmp_o_f32_e32 vcc, v2, v2
	s_nop 1
	v_cndmask_b32_e32 v2, v22, v6, vcc
	v_mul_f32_e32 v2, v21, v2
	v_min_f32_e32 v2, 0x43e00000, v2
	v_max_f32_e32 v2, 0xc3e00000, v2
	v_and_b32_e32 v6, 0x7fffffff, v2
	v_cmp_gt_u32_e32 vcc, s16, v6
	s_and_saveexec_b64 s[2:3], vcc
	s_cbranch_execz .LBB20_90
; %bb.85:                               ;   in Loop: Header=BB20_30 Depth=1
	v_cmp_lt_u32_e32 vcc, s17, v6
                                        ; implicit-def: $vgpr10
	s_and_saveexec_b64 s[6:7], vcc
	s_xor_b64 s[6:7], exec, s[6:7]
; %bb.86:                               ;   in Loop: Header=BB20_30 Depth=1
	v_bfe_u32 v6, v2, 20, 1
	v_add3_u32 v6, v2, v6, s19
	v_lshrrev_b32_e32 v10, 20, v6
; %bb.87:                               ;   in Loop: Header=BB20_30 Depth=1
	s_andn2_saveexec_b64 s[6:7], s[6:7]
; %bb.88:                               ;   in Loop: Header=BB20_30 Depth=1
	v_add_f32_e64 v10, |v2|, s20
; %bb.89:                               ;   in Loop: Header=BB20_30 Depth=1
	s_or_b64 exec, exec, s[6:7]
.LBB20_90:                              ;   in Loop: Header=BB20_30 Depth=1
	s_or_b64 exec, exec, s[2:3]
	v_lshrrev_b32_e32 v2, 24, v2
	v_and_or_b32 v2, v2, s21, v10
	v_add_u32_e32 v6, 9, v20
	global_store_byte v6, v2, s[10:11]
	v_lshlrev_b32_e32 v2, 16, v7
	v_mul_f32_e32 v2, v1, v2
	v_bfe_u32 v6, v2, 16, 1
	v_add3_u32 v6, v2, v6, s15
	v_and_b32_e32 v6, 0xffff0000, v6
	v_cmp_o_f32_e32 vcc, v2, v2
	v_mov_b32_e32 v10, 0x7f
	s_nop 0
	v_cndmask_b32_e32 v2, v22, v6, vcc
	v_lshlrev_b32_e32 v6, 16, v3
	v_mul_f32_e32 v2, v2, v6
	v_bfe_u32 v6, v2, 16, 1
	v_add3_u32 v6, v2, v6, s15
	v_and_b32_e32 v6, 0xffff0000, v6
	v_cmp_o_f32_e32 vcc, v2, v2
	s_nop 1
	v_cndmask_b32_e32 v2, v22, v6, vcc
	v_mul_f32_e32 v2, v21, v2
	v_min_f32_e32 v2, 0x43e00000, v2
	v_max_f32_e32 v6, 0xc3e00000, v2
	v_and_b32_e32 v11, 0x7fffffff, v6
	v_cmp_gt_u32_e32 vcc, s16, v11
	v_mov_b32_e32 v2, 0x7f
	s_and_saveexec_b64 s[2:3], vcc
	s_cbranch_execz .LBB20_96
; %bb.91:                               ;   in Loop: Header=BB20_30 Depth=1
	v_cmp_lt_u32_e32 vcc, s17, v11
                                        ; implicit-def: $vgpr10
	s_and_saveexec_b64 s[6:7], vcc
	s_xor_b64 s[6:7], exec, s[6:7]
; %bb.92:                               ;   in Loop: Header=BB20_30 Depth=1
	v_bfe_u32 v10, v6, 20, 1
	v_add3_u32 v10, v6, v10, s19
	v_lshrrev_b32_e32 v10, 20, v10
; %bb.93:                               ;   in Loop: Header=BB20_30 Depth=1
	s_andn2_saveexec_b64 s[6:7], s[6:7]
; %bb.94:                               ;   in Loop: Header=BB20_30 Depth=1
	v_add_f32_e64 v10, |v6|, s20
; %bb.95:                               ;   in Loop: Header=BB20_30 Depth=1
	s_or_b64 exec, exec, s[6:7]
.LBB20_96:                              ;   in Loop: Header=BB20_30 Depth=1
	s_or_b64 exec, exec, s[2:3]
	v_lshrrev_b32_e32 v6, 24, v6
	v_and_or_b32 v6, v6, s21, v10
	v_add_u32_e32 v10, 10, v20
	global_store_byte v10, v6, s[10:11]
	v_and_b32_e32 v6, 0xffff0000, v7
	v_mul_f32_e32 v6, v1, v6
	v_bfe_u32 v7, v6, 16, 1
	v_add3_u32 v7, v6, v7, s15
	v_and_b32_e32 v7, 0xffff0000, v7
	v_cmp_o_f32_e32 vcc, v6, v6
	v_and_b32_e32 v3, 0xffff0000, v3
	s_nop 0
	v_cndmask_b32_e32 v6, v22, v7, vcc
	v_mul_f32_e32 v3, v6, v3
	v_bfe_u32 v6, v3, 16, 1
	v_add3_u32 v6, v3, v6, s15
	v_and_b32_e32 v6, 0xffff0000, v6
	v_cmp_o_f32_e32 vcc, v3, v3
	s_nop 1
	v_cndmask_b32_e32 v3, v22, v6, vcc
	v_mul_f32_e32 v3, v21, v3
	v_min_f32_e32 v3, 0x43e00000, v3
	v_max_f32_e32 v3, 0xc3e00000, v3
	v_and_b32_e32 v6, 0x7fffffff, v3
	v_cmp_gt_u32_e32 vcc, s16, v6
	s_and_saveexec_b64 s[2:3], vcc
	s_cbranch_execz .LBB20_102
; %bb.97:                               ;   in Loop: Header=BB20_30 Depth=1
	v_cmp_lt_u32_e32 vcc, s17, v6
                                        ; implicit-def: $vgpr2
	s_and_saveexec_b64 s[6:7], vcc
	s_xor_b64 s[6:7], exec, s[6:7]
; %bb.98:                               ;   in Loop: Header=BB20_30 Depth=1
	v_bfe_u32 v2, v3, 20, 1
	v_add3_u32 v2, v3, v2, s19
	v_lshrrev_b32_e32 v2, 20, v2
; %bb.99:                               ;   in Loop: Header=BB20_30 Depth=1
	s_andn2_saveexec_b64 s[6:7], s[6:7]
; %bb.100:                              ;   in Loop: Header=BB20_30 Depth=1
	v_add_f32_e64 v2, |v3|, s20
; %bb.101:                              ;   in Loop: Header=BB20_30 Depth=1
	s_or_b64 exec, exec, s[6:7]
.LBB20_102:                             ;   in Loop: Header=BB20_30 Depth=1
	s_or_b64 exec, exec, s[2:3]
	v_lshrrev_b32_e32 v3, 24, v3
	v_and_or_b32 v2, v3, s21, v2
	v_add_u32_e32 v3, 11, v20
	global_store_byte v3, v2, s[10:11]
	v_lshlrev_b32_e32 v2, 16, v8
	v_mul_f32_e32 v2, v1, v2
	v_bfe_u32 v3, v2, 16, 1
	v_add3_u32 v3, v2, v3, s15
	v_and_b32_e32 v3, 0xffff0000, v3
	v_cmp_o_f32_e32 vcc, v2, v2
	v_mov_b32_e32 v6, 0x7f
	s_nop 0
	v_cndmask_b32_e32 v2, v22, v3, vcc
	v_lshlrev_b32_e32 v3, 16, v4
	v_mul_f32_e32 v2, v2, v3
	v_bfe_u32 v3, v2, 16, 1
	v_add3_u32 v3, v2, v3, s15
	v_and_b32_e32 v3, 0xffff0000, v3
	v_cmp_o_f32_e32 vcc, v2, v2
	s_nop 1
	v_cndmask_b32_e32 v2, v22, v3, vcc
	v_mul_f32_e32 v2, v21, v2
	v_min_f32_e32 v2, 0x43e00000, v2
	v_max_f32_e32 v3, 0xc3e00000, v2
	v_and_b32_e32 v7, 0x7fffffff, v3
	v_cmp_gt_u32_e32 vcc, s16, v7
	v_mov_b32_e32 v2, 0x7f
	s_and_saveexec_b64 s[2:3], vcc
	s_cbranch_execz .LBB20_108
; %bb.103:                              ;   in Loop: Header=BB20_30 Depth=1
	v_cmp_lt_u32_e32 vcc, s17, v7
                                        ; implicit-def: $vgpr6
	s_and_saveexec_b64 s[6:7], vcc
	s_xor_b64 s[6:7], exec, s[6:7]
; %bb.104:                              ;   in Loop: Header=BB20_30 Depth=1
	v_bfe_u32 v6, v3, 20, 1
	v_add3_u32 v6, v3, v6, s19
	v_lshrrev_b32_e32 v6, 20, v6
; %bb.105:                              ;   in Loop: Header=BB20_30 Depth=1
	s_andn2_saveexec_b64 s[6:7], s[6:7]
; %bb.106:                              ;   in Loop: Header=BB20_30 Depth=1
	v_add_f32_e64 v6, |v3|, s20
; %bb.107:                              ;   in Loop: Header=BB20_30 Depth=1
	s_or_b64 exec, exec, s[6:7]
.LBB20_108:                             ;   in Loop: Header=BB20_30 Depth=1
	s_or_b64 exec, exec, s[2:3]
	v_lshrrev_b32_e32 v3, 24, v3
	v_and_or_b32 v3, v3, s21, v6
	v_add_u32_e32 v6, 12, v20
	global_store_byte v6, v3, s[10:11]
	v_and_b32_e32 v3, 0xffff0000, v8
	v_mul_f32_e32 v3, v1, v3
	v_bfe_u32 v6, v3, 16, 1
	v_add3_u32 v6, v3, v6, s15
	v_and_b32_e32 v6, 0xffff0000, v6
	v_cmp_o_f32_e32 vcc, v3, v3
	v_and_b32_e32 v4, 0xffff0000, v4
	s_nop 0
	v_cndmask_b32_e32 v3, v22, v6, vcc
	v_mul_f32_e32 v3, v3, v4
	v_bfe_u32 v4, v3, 16, 1
	v_add3_u32 v4, v3, v4, s15
	v_and_b32_e32 v4, 0xffff0000, v4
	v_cmp_o_f32_e32 vcc, v3, v3
	s_nop 1
	v_cndmask_b32_e32 v3, v22, v4, vcc
	v_mul_f32_e32 v3, v21, v3
	v_min_f32_e32 v3, 0x43e00000, v3
	v_max_f32_e32 v3, 0xc3e00000, v3
	v_and_b32_e32 v4, 0x7fffffff, v3
	v_cmp_gt_u32_e32 vcc, s16, v4
	s_and_saveexec_b64 s[2:3], vcc
	s_cbranch_execz .LBB20_114
; %bb.109:                              ;   in Loop: Header=BB20_30 Depth=1
	v_cmp_lt_u32_e32 vcc, s17, v4
                                        ; implicit-def: $vgpr2
	s_and_saveexec_b64 s[6:7], vcc
	s_xor_b64 s[6:7], exec, s[6:7]
; %bb.110:                              ;   in Loop: Header=BB20_30 Depth=1
	v_bfe_u32 v2, v3, 20, 1
	v_add3_u32 v2, v3, v2, s19
	v_lshrrev_b32_e32 v2, 20, v2
; %bb.111:                              ;   in Loop: Header=BB20_30 Depth=1
	s_andn2_saveexec_b64 s[6:7], s[6:7]
; %bb.112:                              ;   in Loop: Header=BB20_30 Depth=1
	v_add_f32_e64 v2, |v3|, s20
; %bb.113:                              ;   in Loop: Header=BB20_30 Depth=1
	s_or_b64 exec, exec, s[6:7]
.LBB20_114:                             ;   in Loop: Header=BB20_30 Depth=1
	s_or_b64 exec, exec, s[2:3]
	v_lshrrev_b32_e32 v3, 24, v3
	v_and_or_b32 v2, v3, s21, v2
	v_add_u32_e32 v3, 13, v20
	global_store_byte v3, v2, s[10:11]
	v_lshlrev_b32_e32 v2, 16, v9
	v_mul_f32_e32 v2, v1, v2
	v_bfe_u32 v3, v2, 16, 1
	v_add3_u32 v3, v2, v3, s15
	v_and_b32_e32 v3, 0xffff0000, v3
	v_cmp_o_f32_e32 vcc, v2, v2
	v_mov_b32_e32 v4, 0x7f
	s_nop 0
	v_cndmask_b32_e32 v2, v22, v3, vcc
	v_lshlrev_b32_e32 v3, 16, v5
	v_mul_f32_e32 v2, v2, v3
	v_bfe_u32 v3, v2, 16, 1
	v_add3_u32 v3, v2, v3, s15
	v_and_b32_e32 v3, 0xffff0000, v3
	v_cmp_o_f32_e32 vcc, v2, v2
	s_nop 1
	v_cndmask_b32_e32 v2, v22, v3, vcc
	v_mul_f32_e32 v2, v21, v2
	v_min_f32_e32 v2, 0x43e00000, v2
	v_max_f32_e32 v3, 0xc3e00000, v2
	v_and_b32_e32 v6, 0x7fffffff, v3
	v_cmp_gt_u32_e32 vcc, s16, v6
	v_mov_b32_e32 v2, 0x7f
	s_and_saveexec_b64 s[2:3], vcc
	s_cbranch_execz .LBB20_120
; %bb.115:                              ;   in Loop: Header=BB20_30 Depth=1
	v_cmp_lt_u32_e32 vcc, s17, v6
                                        ; implicit-def: $vgpr4
	s_and_saveexec_b64 s[6:7], vcc
	s_xor_b64 s[6:7], exec, s[6:7]
; %bb.116:                              ;   in Loop: Header=BB20_30 Depth=1
	v_bfe_u32 v4, v3, 20, 1
	v_add3_u32 v4, v3, v4, s19
	v_lshrrev_b32_e32 v4, 20, v4
; %bb.117:                              ;   in Loop: Header=BB20_30 Depth=1
	s_andn2_saveexec_b64 s[6:7], s[6:7]
; %bb.118:                              ;   in Loop: Header=BB20_30 Depth=1
	v_add_f32_e64 v4, |v3|, s20
; %bb.119:                              ;   in Loop: Header=BB20_30 Depth=1
	s_or_b64 exec, exec, s[6:7]
.LBB20_120:                             ;   in Loop: Header=BB20_30 Depth=1
	s_or_b64 exec, exec, s[2:3]
	v_lshrrev_b32_e32 v3, 24, v3
	v_and_or_b32 v3, v3, s21, v4
	v_add_u32_e32 v4, 14, v20
	global_store_byte v4, v3, s[10:11]
	v_and_b32_e32 v3, 0xffff0000, v9
	v_mul_f32_e32 v3, v1, v3
	v_bfe_u32 v4, v3, 16, 1
	v_add3_u32 v4, v3, v4, s15
	v_and_b32_e32 v4, 0xffff0000, v4
	v_cmp_o_f32_e32 vcc, v3, v3
	s_nop 1
	v_cndmask_b32_e32 v3, v22, v4, vcc
	v_and_b32_e32 v4, 0xffff0000, v5
	v_mul_f32_e32 v3, v3, v4
	v_bfe_u32 v4, v3, 16, 1
	v_add3_u32 v4, v3, v4, s15
	v_and_b32_e32 v4, 0xffff0000, v4
	v_cmp_o_f32_e32 vcc, v3, v3
	s_nop 1
	v_cndmask_b32_e32 v3, v22, v4, vcc
	v_mul_f32_e32 v3, v21, v3
	v_min_f32_e32 v3, 0x43e00000, v3
	v_max_f32_e32 v3, 0xc3e00000, v3
	v_and_b32_e32 v4, 0x7fffffff, v3
	v_cmp_gt_u32_e32 vcc, s16, v4
	s_and_saveexec_b64 s[2:3], vcc
	s_cbranch_execz .LBB20_29
; %bb.121:                              ;   in Loop: Header=BB20_30 Depth=1
	v_cmp_lt_u32_e32 vcc, s17, v4
                                        ; implicit-def: $vgpr2
	s_and_saveexec_b64 s[6:7], vcc
	s_xor_b64 s[6:7], exec, s[6:7]
; %bb.122:                              ;   in Loop: Header=BB20_30 Depth=1
	v_bfe_u32 v2, v3, 20, 1
	v_add3_u32 v2, v3, v2, s19
	v_lshrrev_b32_e32 v2, 20, v2
; %bb.123:                              ;   in Loop: Header=BB20_30 Depth=1
	s_andn2_saveexec_b64 s[6:7], s[6:7]
	s_cbranch_execz .LBB20_28
; %bb.124:                              ;   in Loop: Header=BB20_30 Depth=1
	v_add_f32_e64 v2, |v3|, s20
	s_branch .LBB20_28
.LBB20_125:
	s_endpgm
	.section	.rodata,"a",@progbits
	.p2align	6, 0x0
	.amdhsa_kernel _ZN4vllm32rms_norm_static_fp8_quant_kernelIN3c108BFloat16ENS1_13Float8_e4m3fnELi16EEEvPT0_PKT_iS8_PKffii
		.amdhsa_group_segment_fixed_size 68
		.amdhsa_private_segment_fixed_size 0
		.amdhsa_kernarg_size 312
		.amdhsa_user_sgpr_count 2
		.amdhsa_user_sgpr_dispatch_ptr 0
		.amdhsa_user_sgpr_queue_ptr 0
		.amdhsa_user_sgpr_kernarg_segment_ptr 1
		.amdhsa_user_sgpr_dispatch_id 0
		.amdhsa_user_sgpr_kernarg_preload_length 0
		.amdhsa_user_sgpr_kernarg_preload_offset 0
		.amdhsa_user_sgpr_private_segment_size 0
		.amdhsa_uses_dynamic_stack 0
		.amdhsa_enable_private_segment 0
		.amdhsa_system_sgpr_workgroup_id_x 1
		.amdhsa_system_sgpr_workgroup_id_y 0
		.amdhsa_system_sgpr_workgroup_id_z 0
		.amdhsa_system_sgpr_workgroup_info 0
		.amdhsa_system_vgpr_workitem_id 0
		.amdhsa_next_free_vgpr 28
		.amdhsa_next_free_sgpr 22
		.amdhsa_accum_offset 28
		.amdhsa_reserve_vcc 1
		.amdhsa_float_round_mode_32 0
		.amdhsa_float_round_mode_16_64 0
		.amdhsa_float_denorm_mode_32 3
		.amdhsa_float_denorm_mode_16_64 3
		.amdhsa_dx10_clamp 1
		.amdhsa_ieee_mode 1
		.amdhsa_fp16_overflow 0
		.amdhsa_tg_split 0
		.amdhsa_exception_fp_ieee_invalid_op 0
		.amdhsa_exception_fp_denorm_src 0
		.amdhsa_exception_fp_ieee_div_zero 0
		.amdhsa_exception_fp_ieee_overflow 0
		.amdhsa_exception_fp_ieee_underflow 0
		.amdhsa_exception_fp_ieee_inexact 0
		.amdhsa_exception_int_div_zero 0
	.end_amdhsa_kernel
	.section	.text._ZN4vllm32rms_norm_static_fp8_quant_kernelIN3c108BFloat16ENS1_13Float8_e4m3fnELi16EEEvPT0_PKT_iS8_PKffii,"axG",@progbits,_ZN4vllm32rms_norm_static_fp8_quant_kernelIN3c108BFloat16ENS1_13Float8_e4m3fnELi16EEEvPT0_PKT_iS8_PKffii,comdat
.Lfunc_end20:
	.size	_ZN4vllm32rms_norm_static_fp8_quant_kernelIN3c108BFloat16ENS1_13Float8_e4m3fnELi16EEEvPT0_PKT_iS8_PKffii, .Lfunc_end20-_ZN4vllm32rms_norm_static_fp8_quant_kernelIN3c108BFloat16ENS1_13Float8_e4m3fnELi16EEEvPT0_PKT_iS8_PKffii
                                        ; -- End function
	.section	.AMDGPU.csdata,"",@progbits
; Kernel info:
; codeLenInByte = 5688
; NumSgprs: 28
; NumVgprs: 28
; NumAgprs: 0
; TotalNumVgprs: 28
; ScratchSize: 0
; MemoryBound: 0
; FloatMode: 240
; IeeeMode: 1
; LDSByteSize: 68 bytes/workgroup (compile time only)
; SGPRBlocks: 3
; VGPRBlocks: 3
; NumSGPRsForWavesPerEU: 28
; NumVGPRsForWavesPerEU: 28
; AccumOffset: 28
; Occupancy: 8
; WaveLimiterHint : 0
; COMPUTE_PGM_RSRC2:SCRATCH_EN: 0
; COMPUTE_PGM_RSRC2:USER_SGPR: 2
; COMPUTE_PGM_RSRC2:TRAP_HANDLER: 0
; COMPUTE_PGM_RSRC2:TGID_X_EN: 1
; COMPUTE_PGM_RSRC2:TGID_Y_EN: 0
; COMPUTE_PGM_RSRC2:TGID_Z_EN: 0
; COMPUTE_PGM_RSRC2:TIDIG_COMP_CNT: 0
; COMPUTE_PGM_RSRC3_GFX90A:ACCUM_OFFSET: 6
; COMPUTE_PGM_RSRC3_GFX90A:TG_SPLIT: 0
	.section	.text._ZN4vllm32rms_norm_static_fp8_quant_kernelIN3c108BFloat16ENS1_13Float8_e4m3fnELi8EEEvPT0_PKT_iS8_PKffii,"axG",@progbits,_ZN4vllm32rms_norm_static_fp8_quant_kernelIN3c108BFloat16ENS1_13Float8_e4m3fnELi8EEEvPT0_PKT_iS8_PKffii,comdat
	.protected	_ZN4vllm32rms_norm_static_fp8_quant_kernelIN3c108BFloat16ENS1_13Float8_e4m3fnELi8EEEvPT0_PKT_iS8_PKffii ; -- Begin function _ZN4vllm32rms_norm_static_fp8_quant_kernelIN3c108BFloat16ENS1_13Float8_e4m3fnELi8EEEvPT0_PKT_iS8_PKffii
	.globl	_ZN4vllm32rms_norm_static_fp8_quant_kernelIN3c108BFloat16ENS1_13Float8_e4m3fnELi8EEEvPT0_PKT_iS8_PKffii
	.p2align	8
	.type	_ZN4vllm32rms_norm_static_fp8_quant_kernelIN3c108BFloat16ENS1_13Float8_e4m3fnELi8EEEvPT0_PKT_iS8_PKffii,@function
_ZN4vllm32rms_norm_static_fp8_quant_kernelIN3c108BFloat16ENS1_13Float8_e4m3fnELi8EEEvPT0_PKT_iS8_PKffii: ; @_ZN4vllm32rms_norm_static_fp8_quant_kernelIN3c108BFloat16ENS1_13Float8_e4m3fnELi8EEEvPT0_PKT_iS8_PKffii
; %bb.0:
	s_load_dword s6, s[0:1], 0x10
	s_load_dwordx2 s[4:5], s[0:1], 0x8
	s_load_dword s3, s[0:1], 0x30
	s_load_dword s12, s[0:1], 0x44
	s_mov_b32 s11, 0
	s_waitcnt lgkmcnt(0)
	s_mul_i32 s10, s2, s6
	s_lshl_b64 s[6:7], s[10:11], 1
	s_add_u32 s8, s4, s6
	s_addc_u32 s9, s5, s7
	s_and_b32 s18, s12, 0xffff
	s_and_b32 s10, s8, 15
	s_cmp_lg_u64 s[10:11], 0
	s_cselect_b64 s[10:11], -1, 0
	s_and_b32 s12, s3, 7
	s_cmp_lg_u32 s12, 0
	s_cselect_b64 s[12:13], -1, 0
	s_or_b64 s[10:11], s[10:11], s[12:13]
	s_and_b64 vcc, exec, s[10:11]
	s_cbranch_vccz .LBB21_14
; %bb.1:
	s_sub_i32 s10, 0, s8
	s_bfe_u32 s10, s10, 0x30001
	s_min_i32 s10, s10, s3
	v_cmp_gt_i32_e32 vcc, s10, v0
	v_mov_b32_e32 v3, 0
	s_and_saveexec_b64 s[12:13], vcc
	s_cbranch_execz .LBB21_5
; %bb.2:
	s_add_u32 s16, s4, s6
	v_lshlrev_b32_e32 v2, 1, v0
	v_mov_b32_e32 v3, 0
	s_addc_u32 s17, s5, s7
	s_mov_b32 s15, 0
	v_lshl_add_u64 v[4:5], s[16:17], 0, v[2:3]
	s_lshl_b32 s14, s18, 1
	s_mov_b64 s[16:17], 0
	v_mov_b32_e32 v1, v0
.LBB21_3:                               ; =>This Inner Loop Header: Depth=1
	global_load_ushort v2, v[4:5], off
	v_add_u32_e32 v1, s18, v1
	v_cmp_le_i32_e32 vcc, s10, v1
	v_lshl_add_u64 v[4:5], v[4:5], 0, s[14:15]
	s_or_b64 s[16:17], vcc, s[16:17]
	s_waitcnt vmcnt(0)
	v_lshlrev_b32_e32 v2, 16, v2
	v_fmac_f32_e32 v3, v2, v2
	s_andn2_b64 exec, exec, s[16:17]
	s_cbranch_execnz .LBB21_3
; %bb.4:
	s_or_b64 exec, exec, s[16:17]
.LBB21_5:
	s_or_b64 exec, exec, s[12:13]
	s_sub_i32 s19, s3, s10
	s_ashr_i32 s12, s19, 31
	s_lshr_b32 s12, s12, 29
	s_add_i32 s12, s19, s12
	s_ashr_i32 s20, s12, 3
	s_ashr_i32 s11, s10, 31
	v_cmp_gt_i32_e32 vcc, s20, v0
	s_and_saveexec_b64 s[12:13], vcc
	s_cbranch_execz .LBB21_9
; %bb.6:
	s_lshl_b64 s[16:17], s[10:11], 1
	s_add_u32 s14, s4, s6
	s_addc_u32 s21, s5, s7
	s_add_u32 s16, s14, s16
	v_lshlrev_b32_e32 v4, 4, v0
	v_mov_b32_e32 v5, 0
	s_addc_u32 s17, s21, s17
	v_lshl_add_u64 v[4:5], s[16:17], 0, v[4:5]
	s_mov_b32 s15, 0
	v_lshl_add_u64 v[4:5], v[4:5], 0, 8
	s_lshl_b32 s14, s18, 4
	s_mov_b64 s[16:17], 0
	v_mov_b32_e32 v1, v0
.LBB21_7:                               ; =>This Inner Loop Header: Depth=1
	global_load_dwordx4 v[6:9], v[4:5], off offset:-8
	v_add_u32_e32 v1, s18, v1
	v_cmp_le_i32_e32 vcc, s20, v1
	v_lshl_add_u64 v[4:5], v[4:5], 0, s[14:15]
	s_or_b64 s[16:17], vcc, s[16:17]
	s_waitcnt vmcnt(0)
	v_and_b32_e32 v11, 0xffff0000, v6
	v_lshlrev_b32_e32 v10, 16, v6
	v_and_b32_e32 v13, 0xffff0000, v7
	v_lshlrev_b32_e32 v12, 16, v7
	;; [unrolled: 2-line block ×4, first 2 shown]
	v_pk_mul_f32 v[8:9], v[10:11], v[10:11]
	v_pk_mul_f32 v[10:11], v[12:13], v[12:13]
	v_add_f32_e32 v2, v3, v8
	v_add_f32_e32 v2, v2, v9
	;; [unrolled: 1-line block ×3, first 2 shown]
	v_pk_mul_f32 v[6:7], v[6:7], v[6:7]
	v_add_f32_e32 v2, v2, v11
	v_add_f32_e32 v2, v2, v6
	v_pk_mul_f32 v[12:13], v[14:15], v[14:15]
	v_add_f32_e32 v2, v2, v7
	v_add_f32_e32 v2, v2, v12
	;; [unrolled: 1-line block ×3, first 2 shown]
	s_andn2_b64 exec, exec, s[16:17]
	s_cbranch_execnz .LBB21_7
; %bb.8:
	s_or_b64 exec, exec, s[16:17]
.LBB21_9:
	s_or_b64 exec, exec, s[12:13]
	v_lshl_add_u32 v4, s20, 3, v0
	v_cmp_gt_i32_e32 vcc, s19, v4
	s_and_saveexec_b64 s[12:13], vcc
	s_cbranch_execz .LBB21_13
; %bb.10:
	s_lshl_b64 s[10:11], s[10:11], 1
	s_add_u32 s14, s4, s6
	s_addc_u32 s15, s5, s7
	s_add_u32 s10, s14, s10
	v_ashrrev_i32_e32 v5, 31, v4
	s_addc_u32 s11, s15, s11
	v_lshl_add_u64 v[6:7], v[4:5], 1, s[10:11]
	s_lshl_b32 s10, s18, 1
	s_mov_b32 s11, 0
	s_mov_b64 s[14:15], 0
.LBB21_11:                              ; =>This Inner Loop Header: Depth=1
	global_load_ushort v1, v[6:7], off
	v_add_u32_e32 v4, s18, v4
	v_cmp_le_i32_e32 vcc, s19, v4
	v_lshl_add_u64 v[6:7], v[6:7], 0, s[10:11]
	s_or_b64 s[14:15], vcc, s[14:15]
	s_waitcnt vmcnt(0)
	v_lshlrev_b32_e32 v1, 16, v1
	v_fmac_f32_e32 v3, v1, v1
	s_andn2_b64 exec, exec, s[14:15]
	s_cbranch_execnz .LBB21_11
; %bb.12:
	s_or_b64 exec, exec, s[14:15]
.LBB21_13:
	s_or_b64 exec, exec, s[12:13]
	s_branch .LBB21_20
.LBB21_14:
                                        ; implicit-def: $vgpr3
	s_cbranch_execz .LBB21_20
; %bb.15:
	s_ashr_i32 s14, s3, 3
	v_cmp_gt_i32_e32 vcc, s14, v0
	v_mov_b32_e32 v3, 0
	s_and_saveexec_b64 s[10:11], vcc
	s_cbranch_execz .LBB21_19
; %bb.16:
	s_add_u32 s4, s4, s6
	v_lshlrev_b32_e32 v2, 4, v0
	v_mov_b32_e32 v3, 0
	s_addc_u32 s5, s5, s7
	v_lshl_add_u64 v[4:5], s[4:5], 0, v[2:3]
	s_mov_b32 s13, 0
	v_lshl_add_u64 v[4:5], v[4:5], 0, 8
	s_lshl_b32 s12, s18, 4
	s_mov_b64 s[4:5], 0
	v_mov_b32_e32 v1, v0
.LBB21_17:                              ; =>This Inner Loop Header: Depth=1
	global_load_dwordx4 v[6:9], v[4:5], off offset:-8
	v_add_u32_e32 v1, s18, v1
	v_cmp_le_i32_e32 vcc, s14, v1
	v_lshl_add_u64 v[4:5], v[4:5], 0, s[12:13]
	s_or_b64 s[4:5], vcc, s[4:5]
	s_waitcnt vmcnt(0)
	v_and_b32_e32 v11, 0xffff0000, v6
	v_lshlrev_b32_e32 v10, 16, v6
	v_and_b32_e32 v13, 0xffff0000, v7
	v_lshlrev_b32_e32 v12, 16, v7
	;; [unrolled: 2-line block ×4, first 2 shown]
	v_pk_mul_f32 v[8:9], v[10:11], v[10:11]
	v_pk_mul_f32 v[10:11], v[12:13], v[12:13]
	v_add_f32_e32 v2, v3, v8
	v_add_f32_e32 v2, v9, v2
	;; [unrolled: 1-line block ×3, first 2 shown]
	v_pk_mul_f32 v[6:7], v[6:7], v[6:7]
	v_add_f32_e32 v2, v11, v2
	v_add_f32_e32 v2, v6, v2
	v_pk_mul_f32 v[12:13], v[14:15], v[14:15]
	v_add_f32_e32 v2, v7, v2
	v_add_f32_e32 v2, v12, v2
	;; [unrolled: 1-line block ×3, first 2 shown]
	s_andn2_b64 exec, exec, s[4:5]
	s_cbranch_execnz .LBB21_17
; %bb.18:
	s_or_b64 exec, exec, s[4:5]
.LBB21_19:
	s_or_b64 exec, exec, s[10:11]
.LBB21_20:
	v_mbcnt_lo_u32_b32 v1, -1, 0
	v_mbcnt_hi_u32_b32 v1, -1, v1
	v_and_b32_e32 v2, 63, v1
	v_cmp_ne_u32_e32 vcc, 63, v2
	v_and_b32_e32 v5, 0x3c0, v0
	v_sub_u32_e64 v5, s18, v5 clamp
	v_addc_co_u32_e32 v4, vcc, 0, v1, vcc
	v_lshlrev_b32_e32 v4, 2, v4
	ds_bpermute_b32 v4, v4, v3
	v_add_u32_e32 v6, 1, v1
	v_cmp_lt_u32_e32 vcc, v6, v5
	v_add_u32_e32 v6, 2, v1
	s_waitcnt lgkmcnt(0)
	v_add_f32_e32 v4, v3, v4
	v_cndmask_b32_e32 v3, v3, v4, vcc
	v_cmp_gt_u32_e32 vcc, 62, v2
	s_nop 1
	v_cndmask_b32_e64 v4, 0, 1, vcc
	v_lshlrev_b32_e32 v4, 1, v4
	v_add_lshl_u32 v4, v4, v1, 2
	ds_bpermute_b32 v4, v4, v3
	v_cmp_lt_u32_e32 vcc, v6, v5
	v_add_u32_e32 v6, 4, v1
	s_waitcnt lgkmcnt(0)
	v_add_f32_e32 v4, v3, v4
	v_cndmask_b32_e32 v3, v3, v4, vcc
	v_cmp_gt_u32_e32 vcc, 60, v2
	s_nop 1
	v_cndmask_b32_e64 v4, 0, 1, vcc
	v_lshlrev_b32_e32 v4, 2, v4
	v_add_lshl_u32 v4, v4, v1, 2
	ds_bpermute_b32 v4, v4, v3
	;; [unrolled: 11-line block ×4, first 2 shown]
	v_cmp_lt_u32_e32 vcc, v6, v5
	s_waitcnt lgkmcnt(0)
	v_add_f32_e32 v4, v3, v4
	v_cndmask_b32_e32 v3, v3, v4, vcc
	v_cmp_gt_u32_e32 vcc, 32, v2
	v_add_u32_e32 v4, 32, v1
	s_nop 0
	v_cndmask_b32_e64 v2, 0, 1, vcc
	v_lshlrev_b32_e32 v2, 5, v2
	v_add_lshl_u32 v2, v2, v1, 2
	ds_bpermute_b32 v2, v2, v3
	v_cmp_lt_u32_e32 vcc, v4, v5
	s_waitcnt lgkmcnt(0)
	v_add_f32_e32 v2, v3, v2
	v_cndmask_b32_e32 v2, v3, v2, vcc
	v_cmp_eq_u32_e32 vcc, 0, v1
	s_and_saveexec_b64 s[4:5], vcc
	s_cbranch_execz .LBB21_22
; %bb.21:
	v_lshrrev_b32_e32 v3, 4, v0
	v_and_b32_e32 v3, 60, v3
	ds_write_b32 v3, v2
.LBB21_22:
	s_or_b64 exec, exec, s[4:5]
	v_cmp_gt_u32_e32 vcc, 16, v0
	s_waitcnt lgkmcnt(0)
	s_barrier
	s_and_saveexec_b64 s[6:7], vcc
	s_cbranch_execz .LBB21_24
; %bb.23:
	v_lshlrev_b32_e32 v2, 2, v1
	ds_read_b32 v2, v2
	v_and_b32_e32 v3, 15, v1
	v_cmp_ne_u32_e32 vcc, 15, v3
	s_add_i32 s4, s18, 63
	s_lshr_b32 s10, s4, 6
	v_addc_co_u32_e32 v4, vcc, 0, v1, vcc
	v_lshlrev_b32_e32 v4, 2, v4
	s_waitcnt lgkmcnt(0)
	ds_bpermute_b32 v4, v4, v2
	v_add_u32_e32 v5, 1, v3
	v_cmp_gt_u32_e64 s[4:5], 14, v3
	v_cmp_gt_u32_e32 vcc, s10, v5
	v_add_u32_e32 v6, 2, v3
	v_cndmask_b32_e64 v5, 0, 1, s[4:5]
	s_waitcnt lgkmcnt(0)
	v_add_f32_e32 v4, v2, v4
	v_lshlrev_b32_e32 v5, 1, v5
	v_cndmask_b32_e32 v4, v2, v4, vcc
	v_add_lshl_u32 v5, v5, v1, 2
	ds_bpermute_b32 v5, v5, v4
	v_cmp_gt_u32_e64 s[4:5], s10, v6
	v_add_u32_e32 v6, 4, v3
	s_waitcnt lgkmcnt(0)
	v_add_f32_e32 v5, v4, v5
	v_cndmask_b32_e64 v4, v4, v5, s[4:5]
	v_cmp_gt_u32_e64 s[4:5], 12, v3
	s_nop 1
	v_cndmask_b32_e64 v5, 0, 1, s[4:5]
	v_lshlrev_b32_e32 v5, 2, v5
	v_add_lshl_u32 v5, v5, v1, 2
	ds_bpermute_b32 v5, v5, v4
	v_cmp_gt_u32_e64 s[4:5], s10, v6
	s_waitcnt lgkmcnt(0)
	v_add_f32_e32 v5, v4, v5
	v_cndmask_b32_e64 v4, v4, v5, s[4:5]
	v_cmp_gt_u32_e64 s[4:5], 8, v3
	v_add_u32_e32 v3, 8, v3
	s_nop 0
	v_cndmask_b32_e64 v5, 0, 1, s[4:5]
	v_lshlrev_b32_e32 v5, 3, v5
	v_add_lshl_u32 v1, v5, v1, 2
	ds_bpermute_b32 v1, v1, v4
	v_cmp_gt_u32_e64 s[4:5], s10, v3
	s_waitcnt lgkmcnt(0)
	v_add_f32_e32 v1, v4, v1
	v_cndmask_b32_e64 v1, v4, v1, s[4:5]
	v_cndmask_b32_e32 v2, v2, v1, vcc
.LBB21_24:
	s_or_b64 exec, exec, s[6:7]
	v_cmp_eq_u32_e32 vcc, 0, v0
	s_and_saveexec_b64 s[4:5], vcc
	s_cbranch_execz .LBB21_26
; %bb.25:
	v_cvt_f32_i32_e32 v1, s3
	s_load_dword s10, s[0:1], 0x28
	v_div_scale_f32 v3, s[6:7], v1, v1, v2
	v_rcp_f32_e32 v4, v3
	v_div_scale_f32 v5, vcc, v2, v1, v2
	s_mov_b32 s6, 0x800000
	v_fma_f32 v6, -v3, v4, 1.0
	v_fmac_f32_e32 v4, v6, v4
	v_mul_f32_e32 v6, v5, v4
	v_fma_f32 v7, -v3, v6, v5
	v_fmac_f32_e32 v6, v7, v4
	v_fma_f32 v3, -v3, v6, v5
	v_div_fmas_f32 v3, v3, v4, v6
	v_div_fixup_f32 v1, v3, v1, v2
	s_waitcnt lgkmcnt(0)
	v_add_f32_e32 v1, s10, v1
	v_mul_f32_e32 v2, 0x4b800000, v1
	v_cmp_gt_f32_e32 vcc, s6, v1
	s_nop 1
	v_cndmask_b32_e32 v1, v1, v2, vcc
	v_rsq_f32_e32 v1, v1
	s_nop 0
	v_mul_f32_e32 v2, 0x45800000, v1
	v_cndmask_b32_e32 v1, v1, v2, vcc
	v_mov_b32_e32 v2, 0
	ds_write_b32 v2, v1 offset:64
.LBB21_26:
	s_or_b64 exec, exec, s[4:5]
	s_ashr_i32 s4, s3, 31
	s_lshr_b32 s4, s4, 29
	s_add_i32 s4, s3, s4
	s_ashr_i32 s12, s4, 3
	v_cmp_gt_i32_e32 vcc, s12, v0
	s_waitcnt lgkmcnt(0)
	s_barrier
	s_and_saveexec_b64 s[4:5], vcc
	s_cbranch_execz .LBB21_77
; %bb.27:
	s_load_dwordx4 s[4:7], s[0:1], 0x18
	s_load_dwordx2 s[10:11], s[0:1], 0x0
	s_mul_i32 s2, s2, s3
	v_mov_b32_e32 v11, 0
	ds_read_b32 v1, v11 offset:64
	s_waitcnt lgkmcnt(0)
	s_load_dword s3, s[6:7], 0x0
	s_lshl_b32 s13, s18, 3
	v_lshlrev_b32_e32 v10, 4, v0
	v_lshl_add_u32 v12, v0, 3, s2
	s_lshl_b32 s14, s18, 4
	s_waitcnt lgkmcnt(0)
	v_div_scale_f32 v2, s[0:1], s3, s3, 1.0
	v_rcp_f32_e32 v3, v2
	v_div_scale_f32 v4, vcc, 1.0, s3, 1.0
	s_mov_b64 s[0:1], 0
	v_fma_f32 v5, -v2, v3, 1.0
	v_fmac_f32_e32 v3, v5, v3
	v_mul_f32_e32 v5, v4, v3
	v_fma_f32 v6, -v2, v5, v4
	v_fmac_f32_e32 v5, v6, v3
	v_fma_f32 v2, -v2, v5, v4
	v_div_fmas_f32 v2, v2, v3, v5
	v_div_fixup_f32 v13, v2, s3, 1.0
	s_movk_i32 s15, 0x7fff
	v_mov_b32_e32 v14, 0x7fc00000
	s_mov_b32 s16, 0x43f00000
	s_mov_b32 s17, 0x3c7fffff
	;; [unrolled: 1-line block ×4, first 2 shown]
	s_movk_i32 s21, 0x80
	s_branch .LBB21_30
.LBB21_28:                              ;   in Loop: Header=BB21_30 Depth=1
	s_or_b64 exec, exec, s[6:7]
.LBB21_29:                              ;   in Loop: Header=BB21_30 Depth=1
	s_or_b64 exec, exec, s[2:3]
	s_add_u32 s4, s4, s14
	s_addc_u32 s5, s5, 0
	v_add_u32_e32 v0, s18, v0
	s_add_u32 s8, s8, s14
	v_lshrrev_b32_e32 v3, 24, v3
	s_addc_u32 s9, s9, 0
	v_cmp_le_i32_e32 vcc, s12, v0
	v_and_or_b32 v2, v3, s21, v2
	v_add_u32_e32 v3, 7, v12
	s_or_b64 s[0:1], vcc, s[0:1]
	v_add_u32_e32 v12, s13, v12
	global_store_byte v3, v2, s[10:11]
	s_andn2_b64 exec, exec, s[0:1]
	s_cbranch_execz .LBB21_77
.LBB21_30:                              ; =>This Inner Loop Header: Depth=1
	v_lshl_add_u64 v[2:3], s[8:9], 0, v[10:11]
	global_load_dwordx4 v[6:9], v[2:3], off
	v_lshl_add_u64 v[2:3], s[4:5], 0, v[10:11]
	global_load_dwordx4 v[2:5], v[2:3], off
	v_mov_b32_e32 v15, 0x7f
	s_waitcnt vmcnt(1)
	v_lshlrev_b32_e32 v16, 16, v6
	v_mul_f32_e32 v16, v1, v16
	v_bfe_u32 v18, v16, 16, 1
	v_add3_u32 v18, v16, v18, s15
	v_and_b32_e32 v18, 0xffff0000, v18
	v_cmp_o_f32_e32 vcc, v16, v16
	s_waitcnt vmcnt(0)
	v_lshlrev_b32_e32 v17, 16, v2
	v_cndmask_b32_e32 v16, v14, v18, vcc
	v_mul_f32_e32 v16, v16, v17
	v_bfe_u32 v17, v16, 16, 1
	v_add3_u32 v17, v16, v17, s15
	v_and_b32_e32 v17, 0xffff0000, v17
	v_cmp_o_f32_e32 vcc, v16, v16
	s_nop 1
	v_cndmask_b32_e32 v16, v14, v17, vcc
	v_mul_f32_e32 v16, v13, v16
	v_min_f32_e32 v16, 0x43e00000, v16
	v_max_f32_e32 v16, 0xc3e00000, v16
	v_and_b32_e32 v18, 0x7fffffff, v16
	v_cmp_gt_u32_e32 vcc, s16, v18
	v_mov_b32_e32 v17, 0x7f
	s_and_saveexec_b64 s[2:3], vcc
	s_cbranch_execz .LBB21_36
; %bb.31:                               ;   in Loop: Header=BB21_30 Depth=1
	v_cmp_lt_u32_e32 vcc, s17, v18
                                        ; implicit-def: $vgpr17
	s_and_saveexec_b64 s[6:7], vcc
	s_xor_b64 s[6:7], exec, s[6:7]
; %bb.32:                               ;   in Loop: Header=BB21_30 Depth=1
	v_bfe_u32 v17, v16, 20, 1
	v_add3_u32 v17, v16, v17, s19
	v_lshrrev_b32_e32 v17, 20, v17
; %bb.33:                               ;   in Loop: Header=BB21_30 Depth=1
	s_andn2_saveexec_b64 s[6:7], s[6:7]
; %bb.34:                               ;   in Loop: Header=BB21_30 Depth=1
	v_add_f32_e64 v17, |v16|, s20
; %bb.35:                               ;   in Loop: Header=BB21_30 Depth=1
	s_or_b64 exec, exec, s[6:7]
.LBB21_36:                              ;   in Loop: Header=BB21_30 Depth=1
	s_or_b64 exec, exec, s[2:3]
	v_lshrrev_b32_e32 v16, 24, v16
	v_and_b32_e32 v6, 0xffff0000, v6
	v_and_or_b32 v16, v16, s21, v17
	v_mul_f32_e32 v6, v1, v6
	global_store_byte v12, v16, s[10:11]
	v_bfe_u32 v16, v6, 16, 1
	v_add3_u32 v16, v6, v16, s15
	v_and_b32_e32 v16, 0xffff0000, v16
	v_cmp_o_f32_e32 vcc, v6, v6
	v_and_b32_e32 v2, 0xffff0000, v2
	s_nop 0
	v_cndmask_b32_e32 v6, v14, v16, vcc
	v_mul_f32_e32 v2, v6, v2
	v_bfe_u32 v6, v2, 16, 1
	v_add3_u32 v6, v2, v6, s15
	v_and_b32_e32 v6, 0xffff0000, v6
	v_cmp_o_f32_e32 vcc, v2, v2
	s_nop 1
	v_cndmask_b32_e32 v2, v14, v6, vcc
	v_mul_f32_e32 v2, v13, v2
	v_min_f32_e32 v2, 0x43e00000, v2
	v_max_f32_e32 v2, 0xc3e00000, v2
	v_and_b32_e32 v6, 0x7fffffff, v2
	v_cmp_gt_u32_e32 vcc, s16, v6
	s_and_saveexec_b64 s[2:3], vcc
	s_cbranch_execz .LBB21_42
; %bb.37:                               ;   in Loop: Header=BB21_30 Depth=1
	v_cmp_lt_u32_e32 vcc, s17, v6
                                        ; implicit-def: $vgpr15
	s_and_saveexec_b64 s[6:7], vcc
	s_xor_b64 s[6:7], exec, s[6:7]
; %bb.38:                               ;   in Loop: Header=BB21_30 Depth=1
	v_bfe_u32 v6, v2, 20, 1
	v_add3_u32 v6, v2, v6, s19
	v_lshrrev_b32_e32 v15, 20, v6
; %bb.39:                               ;   in Loop: Header=BB21_30 Depth=1
	s_andn2_saveexec_b64 s[6:7], s[6:7]
; %bb.40:                               ;   in Loop: Header=BB21_30 Depth=1
	v_add_f32_e64 v15, |v2|, s20
; %bb.41:                               ;   in Loop: Header=BB21_30 Depth=1
	s_or_b64 exec, exec, s[6:7]
.LBB21_42:                              ;   in Loop: Header=BB21_30 Depth=1
	s_or_b64 exec, exec, s[2:3]
	v_lshrrev_b32_e32 v2, 24, v2
	v_and_or_b32 v2, v2, s21, v15
	v_add_u32_e32 v6, 1, v12
	global_store_byte v6, v2, s[10:11]
	v_lshlrev_b32_e32 v2, 16, v7
	v_mul_f32_e32 v2, v1, v2
	v_bfe_u32 v6, v2, 16, 1
	v_add3_u32 v6, v2, v6, s15
	v_and_b32_e32 v6, 0xffff0000, v6
	v_cmp_o_f32_e32 vcc, v2, v2
	v_mov_b32_e32 v15, 0x7f
	s_nop 0
	v_cndmask_b32_e32 v2, v14, v6, vcc
	v_lshlrev_b32_e32 v6, 16, v3
	v_mul_f32_e32 v2, v2, v6
	v_bfe_u32 v6, v2, 16, 1
	v_add3_u32 v6, v2, v6, s15
	v_and_b32_e32 v6, 0xffff0000, v6
	v_cmp_o_f32_e32 vcc, v2, v2
	s_nop 1
	v_cndmask_b32_e32 v2, v14, v6, vcc
	v_mul_f32_e32 v2, v13, v2
	v_min_f32_e32 v2, 0x43e00000, v2
	v_max_f32_e32 v6, 0xc3e00000, v2
	v_and_b32_e32 v16, 0x7fffffff, v6
	v_cmp_gt_u32_e32 vcc, s16, v16
	v_mov_b32_e32 v2, 0x7f
	s_and_saveexec_b64 s[2:3], vcc
	s_cbranch_execz .LBB21_48
; %bb.43:                               ;   in Loop: Header=BB21_30 Depth=1
	v_cmp_lt_u32_e32 vcc, s17, v16
                                        ; implicit-def: $vgpr15
	s_and_saveexec_b64 s[6:7], vcc
	s_xor_b64 s[6:7], exec, s[6:7]
; %bb.44:                               ;   in Loop: Header=BB21_30 Depth=1
	v_bfe_u32 v15, v6, 20, 1
	v_add3_u32 v15, v6, v15, s19
	v_lshrrev_b32_e32 v15, 20, v15
; %bb.45:                               ;   in Loop: Header=BB21_30 Depth=1
	s_andn2_saveexec_b64 s[6:7], s[6:7]
; %bb.46:                               ;   in Loop: Header=BB21_30 Depth=1
	v_add_f32_e64 v15, |v6|, s20
; %bb.47:                               ;   in Loop: Header=BB21_30 Depth=1
	s_or_b64 exec, exec, s[6:7]
.LBB21_48:                              ;   in Loop: Header=BB21_30 Depth=1
	s_or_b64 exec, exec, s[2:3]
	v_lshrrev_b32_e32 v6, 24, v6
	v_and_or_b32 v6, v6, s21, v15
	v_add_u32_e32 v15, 2, v12
	global_store_byte v15, v6, s[10:11]
	v_and_b32_e32 v6, 0xffff0000, v7
	v_mul_f32_e32 v6, v1, v6
	v_bfe_u32 v7, v6, 16, 1
	v_add3_u32 v7, v6, v7, s15
	v_and_b32_e32 v7, 0xffff0000, v7
	v_cmp_o_f32_e32 vcc, v6, v6
	v_and_b32_e32 v3, 0xffff0000, v3
	s_nop 0
	v_cndmask_b32_e32 v6, v14, v7, vcc
	v_mul_f32_e32 v3, v6, v3
	v_bfe_u32 v6, v3, 16, 1
	v_add3_u32 v6, v3, v6, s15
	v_and_b32_e32 v6, 0xffff0000, v6
	v_cmp_o_f32_e32 vcc, v3, v3
	s_nop 1
	v_cndmask_b32_e32 v3, v14, v6, vcc
	v_mul_f32_e32 v3, v13, v3
	v_min_f32_e32 v3, 0x43e00000, v3
	v_max_f32_e32 v3, 0xc3e00000, v3
	v_and_b32_e32 v6, 0x7fffffff, v3
	v_cmp_gt_u32_e32 vcc, s16, v6
	s_and_saveexec_b64 s[2:3], vcc
	s_cbranch_execz .LBB21_54
; %bb.49:                               ;   in Loop: Header=BB21_30 Depth=1
	v_cmp_lt_u32_e32 vcc, s17, v6
                                        ; implicit-def: $vgpr2
	s_and_saveexec_b64 s[6:7], vcc
	s_xor_b64 s[6:7], exec, s[6:7]
; %bb.50:                               ;   in Loop: Header=BB21_30 Depth=1
	v_bfe_u32 v2, v3, 20, 1
	v_add3_u32 v2, v3, v2, s19
	v_lshrrev_b32_e32 v2, 20, v2
; %bb.51:                               ;   in Loop: Header=BB21_30 Depth=1
	s_andn2_saveexec_b64 s[6:7], s[6:7]
; %bb.52:                               ;   in Loop: Header=BB21_30 Depth=1
	v_add_f32_e64 v2, |v3|, s20
; %bb.53:                               ;   in Loop: Header=BB21_30 Depth=1
	s_or_b64 exec, exec, s[6:7]
.LBB21_54:                              ;   in Loop: Header=BB21_30 Depth=1
	s_or_b64 exec, exec, s[2:3]
	v_lshrrev_b32_e32 v3, 24, v3
	v_and_or_b32 v2, v3, s21, v2
	v_add_u32_e32 v3, 3, v12
	global_store_byte v3, v2, s[10:11]
	v_lshlrev_b32_e32 v2, 16, v8
	v_mul_f32_e32 v2, v1, v2
	v_bfe_u32 v3, v2, 16, 1
	v_add3_u32 v3, v2, v3, s15
	v_and_b32_e32 v3, 0xffff0000, v3
	v_cmp_o_f32_e32 vcc, v2, v2
	v_mov_b32_e32 v6, 0x7f
	s_nop 0
	v_cndmask_b32_e32 v2, v14, v3, vcc
	v_lshlrev_b32_e32 v3, 16, v4
	v_mul_f32_e32 v2, v2, v3
	v_bfe_u32 v3, v2, 16, 1
	v_add3_u32 v3, v2, v3, s15
	v_and_b32_e32 v3, 0xffff0000, v3
	v_cmp_o_f32_e32 vcc, v2, v2
	s_nop 1
	v_cndmask_b32_e32 v2, v14, v3, vcc
	v_mul_f32_e32 v2, v13, v2
	v_min_f32_e32 v2, 0x43e00000, v2
	v_max_f32_e32 v3, 0xc3e00000, v2
	v_and_b32_e32 v7, 0x7fffffff, v3
	v_cmp_gt_u32_e32 vcc, s16, v7
	v_mov_b32_e32 v2, 0x7f
	s_and_saveexec_b64 s[2:3], vcc
	s_cbranch_execz .LBB21_60
; %bb.55:                               ;   in Loop: Header=BB21_30 Depth=1
	v_cmp_lt_u32_e32 vcc, s17, v7
                                        ; implicit-def: $vgpr6
	s_and_saveexec_b64 s[6:7], vcc
	s_xor_b64 s[6:7], exec, s[6:7]
; %bb.56:                               ;   in Loop: Header=BB21_30 Depth=1
	v_bfe_u32 v6, v3, 20, 1
	v_add3_u32 v6, v3, v6, s19
	v_lshrrev_b32_e32 v6, 20, v6
; %bb.57:                               ;   in Loop: Header=BB21_30 Depth=1
	s_andn2_saveexec_b64 s[6:7], s[6:7]
; %bb.58:                               ;   in Loop: Header=BB21_30 Depth=1
	v_add_f32_e64 v6, |v3|, s20
; %bb.59:                               ;   in Loop: Header=BB21_30 Depth=1
	s_or_b64 exec, exec, s[6:7]
.LBB21_60:                              ;   in Loop: Header=BB21_30 Depth=1
	s_or_b64 exec, exec, s[2:3]
	v_lshrrev_b32_e32 v3, 24, v3
	v_and_or_b32 v3, v3, s21, v6
	v_add_u32_e32 v6, 4, v12
	global_store_byte v6, v3, s[10:11]
	v_and_b32_e32 v3, 0xffff0000, v8
	v_mul_f32_e32 v3, v1, v3
	v_bfe_u32 v6, v3, 16, 1
	v_add3_u32 v6, v3, v6, s15
	v_and_b32_e32 v6, 0xffff0000, v6
	v_cmp_o_f32_e32 vcc, v3, v3
	v_and_b32_e32 v4, 0xffff0000, v4
	s_nop 0
	v_cndmask_b32_e32 v3, v14, v6, vcc
	v_mul_f32_e32 v3, v3, v4
	v_bfe_u32 v4, v3, 16, 1
	v_add3_u32 v4, v3, v4, s15
	v_and_b32_e32 v4, 0xffff0000, v4
	v_cmp_o_f32_e32 vcc, v3, v3
	s_nop 1
	v_cndmask_b32_e32 v3, v14, v4, vcc
	v_mul_f32_e32 v3, v13, v3
	v_min_f32_e32 v3, 0x43e00000, v3
	v_max_f32_e32 v3, 0xc3e00000, v3
	v_and_b32_e32 v4, 0x7fffffff, v3
	v_cmp_gt_u32_e32 vcc, s16, v4
	s_and_saveexec_b64 s[2:3], vcc
	s_cbranch_execz .LBB21_66
; %bb.61:                               ;   in Loop: Header=BB21_30 Depth=1
	v_cmp_lt_u32_e32 vcc, s17, v4
                                        ; implicit-def: $vgpr2
	s_and_saveexec_b64 s[6:7], vcc
	s_xor_b64 s[6:7], exec, s[6:7]
; %bb.62:                               ;   in Loop: Header=BB21_30 Depth=1
	v_bfe_u32 v2, v3, 20, 1
	v_add3_u32 v2, v3, v2, s19
	v_lshrrev_b32_e32 v2, 20, v2
; %bb.63:                               ;   in Loop: Header=BB21_30 Depth=1
	s_andn2_saveexec_b64 s[6:7], s[6:7]
; %bb.64:                               ;   in Loop: Header=BB21_30 Depth=1
	v_add_f32_e64 v2, |v3|, s20
; %bb.65:                               ;   in Loop: Header=BB21_30 Depth=1
	s_or_b64 exec, exec, s[6:7]
.LBB21_66:                              ;   in Loop: Header=BB21_30 Depth=1
	s_or_b64 exec, exec, s[2:3]
	v_lshrrev_b32_e32 v3, 24, v3
	v_and_or_b32 v2, v3, s21, v2
	v_add_u32_e32 v3, 5, v12
	global_store_byte v3, v2, s[10:11]
	v_lshlrev_b32_e32 v2, 16, v9
	v_mul_f32_e32 v2, v1, v2
	v_bfe_u32 v3, v2, 16, 1
	v_add3_u32 v3, v2, v3, s15
	v_and_b32_e32 v3, 0xffff0000, v3
	v_cmp_o_f32_e32 vcc, v2, v2
	v_mov_b32_e32 v4, 0x7f
	s_nop 0
	v_cndmask_b32_e32 v2, v14, v3, vcc
	v_lshlrev_b32_e32 v3, 16, v5
	v_mul_f32_e32 v2, v2, v3
	v_bfe_u32 v3, v2, 16, 1
	v_add3_u32 v3, v2, v3, s15
	v_and_b32_e32 v3, 0xffff0000, v3
	v_cmp_o_f32_e32 vcc, v2, v2
	s_nop 1
	v_cndmask_b32_e32 v2, v14, v3, vcc
	v_mul_f32_e32 v2, v13, v2
	v_min_f32_e32 v2, 0x43e00000, v2
	v_max_f32_e32 v3, 0xc3e00000, v2
	v_and_b32_e32 v6, 0x7fffffff, v3
	v_cmp_gt_u32_e32 vcc, s16, v6
	v_mov_b32_e32 v2, 0x7f
	s_and_saveexec_b64 s[2:3], vcc
	s_cbranch_execz .LBB21_72
; %bb.67:                               ;   in Loop: Header=BB21_30 Depth=1
	v_cmp_lt_u32_e32 vcc, s17, v6
                                        ; implicit-def: $vgpr4
	s_and_saveexec_b64 s[6:7], vcc
	s_xor_b64 s[6:7], exec, s[6:7]
; %bb.68:                               ;   in Loop: Header=BB21_30 Depth=1
	v_bfe_u32 v4, v3, 20, 1
	v_add3_u32 v4, v3, v4, s19
	v_lshrrev_b32_e32 v4, 20, v4
; %bb.69:                               ;   in Loop: Header=BB21_30 Depth=1
	s_andn2_saveexec_b64 s[6:7], s[6:7]
; %bb.70:                               ;   in Loop: Header=BB21_30 Depth=1
	v_add_f32_e64 v4, |v3|, s20
; %bb.71:                               ;   in Loop: Header=BB21_30 Depth=1
	s_or_b64 exec, exec, s[6:7]
.LBB21_72:                              ;   in Loop: Header=BB21_30 Depth=1
	s_or_b64 exec, exec, s[2:3]
	v_lshrrev_b32_e32 v3, 24, v3
	v_and_or_b32 v3, v3, s21, v4
	v_add_u32_e32 v4, 6, v12
	global_store_byte v4, v3, s[10:11]
	v_and_b32_e32 v3, 0xffff0000, v9
	v_mul_f32_e32 v3, v1, v3
	v_bfe_u32 v4, v3, 16, 1
	v_add3_u32 v4, v3, v4, s15
	v_and_b32_e32 v4, 0xffff0000, v4
	v_cmp_o_f32_e32 vcc, v3, v3
	s_nop 1
	v_cndmask_b32_e32 v3, v14, v4, vcc
	v_and_b32_e32 v4, 0xffff0000, v5
	v_mul_f32_e32 v3, v3, v4
	v_bfe_u32 v4, v3, 16, 1
	v_add3_u32 v4, v3, v4, s15
	v_and_b32_e32 v4, 0xffff0000, v4
	v_cmp_o_f32_e32 vcc, v3, v3
	s_nop 1
	v_cndmask_b32_e32 v3, v14, v4, vcc
	v_mul_f32_e32 v3, v13, v3
	v_min_f32_e32 v3, 0x43e00000, v3
	v_max_f32_e32 v3, 0xc3e00000, v3
	v_and_b32_e32 v4, 0x7fffffff, v3
	v_cmp_gt_u32_e32 vcc, s16, v4
	s_and_saveexec_b64 s[2:3], vcc
	s_cbranch_execz .LBB21_29
; %bb.73:                               ;   in Loop: Header=BB21_30 Depth=1
	v_cmp_lt_u32_e32 vcc, s17, v4
                                        ; implicit-def: $vgpr2
	s_and_saveexec_b64 s[6:7], vcc
	s_xor_b64 s[6:7], exec, s[6:7]
; %bb.74:                               ;   in Loop: Header=BB21_30 Depth=1
	v_bfe_u32 v2, v3, 20, 1
	v_add3_u32 v2, v3, v2, s19
	v_lshrrev_b32_e32 v2, 20, v2
; %bb.75:                               ;   in Loop: Header=BB21_30 Depth=1
	s_andn2_saveexec_b64 s[6:7], s[6:7]
	s_cbranch_execz .LBB21_28
; %bb.76:                               ;   in Loop: Header=BB21_30 Depth=1
	v_add_f32_e64 v2, |v3|, s20
	s_branch .LBB21_28
.LBB21_77:
	s_endpgm
	.section	.rodata,"a",@progbits
	.p2align	6, 0x0
	.amdhsa_kernel _ZN4vllm32rms_norm_static_fp8_quant_kernelIN3c108BFloat16ENS1_13Float8_e4m3fnELi8EEEvPT0_PKT_iS8_PKffii
		.amdhsa_group_segment_fixed_size 68
		.amdhsa_private_segment_fixed_size 0
		.amdhsa_kernarg_size 312
		.amdhsa_user_sgpr_count 2
		.amdhsa_user_sgpr_dispatch_ptr 0
		.amdhsa_user_sgpr_queue_ptr 0
		.amdhsa_user_sgpr_kernarg_segment_ptr 1
		.amdhsa_user_sgpr_dispatch_id 0
		.amdhsa_user_sgpr_kernarg_preload_length 0
		.amdhsa_user_sgpr_kernarg_preload_offset 0
		.amdhsa_user_sgpr_private_segment_size 0
		.amdhsa_uses_dynamic_stack 0
		.amdhsa_enable_private_segment 0
		.amdhsa_system_sgpr_workgroup_id_x 1
		.amdhsa_system_sgpr_workgroup_id_y 0
		.amdhsa_system_sgpr_workgroup_id_z 0
		.amdhsa_system_sgpr_workgroup_info 0
		.amdhsa_system_vgpr_workitem_id 0
		.amdhsa_next_free_vgpr 19
		.amdhsa_next_free_sgpr 22
		.amdhsa_accum_offset 20
		.amdhsa_reserve_vcc 1
		.amdhsa_float_round_mode_32 0
		.amdhsa_float_round_mode_16_64 0
		.amdhsa_float_denorm_mode_32 3
		.amdhsa_float_denorm_mode_16_64 3
		.amdhsa_dx10_clamp 1
		.amdhsa_ieee_mode 1
		.amdhsa_fp16_overflow 0
		.amdhsa_tg_split 0
		.amdhsa_exception_fp_ieee_invalid_op 0
		.amdhsa_exception_fp_denorm_src 0
		.amdhsa_exception_fp_ieee_div_zero 0
		.amdhsa_exception_fp_ieee_overflow 0
		.amdhsa_exception_fp_ieee_underflow 0
		.amdhsa_exception_fp_ieee_inexact 0
		.amdhsa_exception_int_div_zero 0
	.end_amdhsa_kernel
	.section	.text._ZN4vllm32rms_norm_static_fp8_quant_kernelIN3c108BFloat16ENS1_13Float8_e4m3fnELi8EEEvPT0_PKT_iS8_PKffii,"axG",@progbits,_ZN4vllm32rms_norm_static_fp8_quant_kernelIN3c108BFloat16ENS1_13Float8_e4m3fnELi8EEEvPT0_PKT_iS8_PKffii,comdat
.Lfunc_end21:
	.size	_ZN4vllm32rms_norm_static_fp8_quant_kernelIN3c108BFloat16ENS1_13Float8_e4m3fnELi8EEEvPT0_PKT_iS8_PKffii, .Lfunc_end21-_ZN4vllm32rms_norm_static_fp8_quant_kernelIN3c108BFloat16ENS1_13Float8_e4m3fnELi8EEEvPT0_PKT_iS8_PKffii
                                        ; -- End function
	.section	.AMDGPU.csdata,"",@progbits
; Kernel info:
; codeLenInByte = 3736
; NumSgprs: 28
; NumVgprs: 19
; NumAgprs: 0
; TotalNumVgprs: 19
; ScratchSize: 0
; MemoryBound: 0
; FloatMode: 240
; IeeeMode: 1
; LDSByteSize: 68 bytes/workgroup (compile time only)
; SGPRBlocks: 3
; VGPRBlocks: 2
; NumSGPRsForWavesPerEU: 28
; NumVGPRsForWavesPerEU: 19
; AccumOffset: 20
; Occupancy: 8
; WaveLimiterHint : 0
; COMPUTE_PGM_RSRC2:SCRATCH_EN: 0
; COMPUTE_PGM_RSRC2:USER_SGPR: 2
; COMPUTE_PGM_RSRC2:TRAP_HANDLER: 0
; COMPUTE_PGM_RSRC2:TGID_X_EN: 1
; COMPUTE_PGM_RSRC2:TGID_Y_EN: 0
; COMPUTE_PGM_RSRC2:TGID_Z_EN: 0
; COMPUTE_PGM_RSRC2:TIDIG_COMP_CNT: 0
; COMPUTE_PGM_RSRC3_GFX90A:ACCUM_OFFSET: 4
; COMPUTE_PGM_RSRC3_GFX90A:TG_SPLIT: 0
	.section	.text._ZN4vllm32rms_norm_static_fp8_quant_kernelIN3c108BFloat16ENS1_13Float8_e4m3fnELi4EEEvPT0_PKT_iS8_PKffii,"axG",@progbits,_ZN4vllm32rms_norm_static_fp8_quant_kernelIN3c108BFloat16ENS1_13Float8_e4m3fnELi4EEEvPT0_PKT_iS8_PKffii,comdat
	.protected	_ZN4vllm32rms_norm_static_fp8_quant_kernelIN3c108BFloat16ENS1_13Float8_e4m3fnELi4EEEvPT0_PKT_iS8_PKffii ; -- Begin function _ZN4vllm32rms_norm_static_fp8_quant_kernelIN3c108BFloat16ENS1_13Float8_e4m3fnELi4EEEvPT0_PKT_iS8_PKffii
	.globl	_ZN4vllm32rms_norm_static_fp8_quant_kernelIN3c108BFloat16ENS1_13Float8_e4m3fnELi4EEEvPT0_PKT_iS8_PKffii
	.p2align	8
	.type	_ZN4vllm32rms_norm_static_fp8_quant_kernelIN3c108BFloat16ENS1_13Float8_e4m3fnELi4EEEvPT0_PKT_iS8_PKffii,@function
_ZN4vllm32rms_norm_static_fp8_quant_kernelIN3c108BFloat16ENS1_13Float8_e4m3fnELi4EEEvPT0_PKT_iS8_PKffii: ; @_ZN4vllm32rms_norm_static_fp8_quant_kernelIN3c108BFloat16ENS1_13Float8_e4m3fnELi4EEEvPT0_PKT_iS8_PKffii
; %bb.0:
	s_load_dword s6, s[0:1], 0x10
	s_load_dwordx2 s[4:5], s[0:1], 0x8
	s_load_dword s3, s[0:1], 0x30
	s_load_dword s12, s[0:1], 0x44
	s_mov_b32 s11, 0
	s_waitcnt lgkmcnt(0)
	s_mul_i32 s10, s2, s6
	s_lshl_b64 s[6:7], s[10:11], 1
	s_add_u32 s8, s4, s6
	s_addc_u32 s9, s5, s7
	s_and_b32 s18, s12, 0xffff
	s_and_b32 s10, s8, 7
	s_cmp_lg_u64 s[10:11], 0
	s_cselect_b64 s[10:11], -1, 0
	s_and_b32 s12, s3, 3
	s_cmp_lg_u32 s12, 0
	s_cselect_b64 s[12:13], -1, 0
	s_or_b64 s[10:11], s[10:11], s[12:13]
	s_and_b64 vcc, exec, s[10:11]
	s_cbranch_vccz .LBB22_14
; %bb.1:
	s_sub_i32 s10, 0, s8
	s_bfe_u32 s10, s10, 0x20001
	s_min_i32 s10, s10, s3
	v_cmp_gt_i32_e32 vcc, s10, v0
	v_mov_b32_e32 v3, 0
	s_and_saveexec_b64 s[12:13], vcc
	s_cbranch_execz .LBB22_5
; %bb.2:
	s_add_u32 s16, s4, s6
	v_lshlrev_b32_e32 v2, 1, v0
	v_mov_b32_e32 v3, 0
	s_addc_u32 s17, s5, s7
	s_mov_b32 s15, 0
	v_lshl_add_u64 v[4:5], s[16:17], 0, v[2:3]
	s_lshl_b32 s14, s18, 1
	s_mov_b64 s[16:17], 0
	v_mov_b32_e32 v1, v0
.LBB22_3:                               ; =>This Inner Loop Header: Depth=1
	global_load_ushort v2, v[4:5], off
	v_add_u32_e32 v1, s18, v1
	v_cmp_le_i32_e32 vcc, s10, v1
	v_lshl_add_u64 v[4:5], v[4:5], 0, s[14:15]
	s_or_b64 s[16:17], vcc, s[16:17]
	s_waitcnt vmcnt(0)
	v_lshlrev_b32_e32 v2, 16, v2
	v_fmac_f32_e32 v3, v2, v2
	s_andn2_b64 exec, exec, s[16:17]
	s_cbranch_execnz .LBB22_3
; %bb.4:
	s_or_b64 exec, exec, s[16:17]
.LBB22_5:
	s_or_b64 exec, exec, s[12:13]
	s_sub_i32 s19, s3, s10
	s_ashr_i32 s12, s19, 31
	s_lshr_b32 s12, s12, 30
	s_add_i32 s12, s19, s12
	s_ashr_i32 s20, s12, 2
	s_ashr_i32 s11, s10, 31
	v_cmp_gt_i32_e32 vcc, s20, v0
	s_and_saveexec_b64 s[12:13], vcc
	s_cbranch_execz .LBB22_9
; %bb.6:
	s_lshl_b64 s[16:17], s[10:11], 1
	s_add_u32 s14, s4, s6
	s_addc_u32 s21, s5, s7
	s_add_u32 s16, s14, s16
	v_lshlrev_b32_e32 v4, 3, v0
	v_mov_b32_e32 v5, 0
	s_addc_u32 s17, s21, s17
	v_lshl_add_u64 v[4:5], s[16:17], 0, v[4:5]
	s_mov_b32 s15, 0
	v_lshl_add_u64 v[4:5], v[4:5], 0, 4
	s_lshl_b32 s14, s18, 3
	s_mov_b64 s[16:17], 0
	v_mov_b32_e32 v1, v0
.LBB22_7:                               ; =>This Inner Loop Header: Depth=1
	global_load_dwordx2 v[6:7], v[4:5], off offset:-4
	v_add_u32_e32 v1, s18, v1
	v_cmp_le_i32_e32 vcc, s20, v1
	v_lshl_add_u64 v[4:5], v[4:5], 0, s[14:15]
	s_or_b64 s[16:17], vcc, s[16:17]
	s_waitcnt vmcnt(0)
	v_and_b32_e32 v9, 0xffff0000, v6
	v_lshlrev_b32_e32 v8, 16, v6
	v_and_b32_e32 v11, 0xffff0000, v7
	v_lshlrev_b32_e32 v10, 16, v7
	v_pk_mul_f32 v[6:7], v[8:9], v[8:9]
	v_pk_mul_f32 v[8:9], v[10:11], v[10:11]
	v_add_f32_e32 v2, v3, v6
	v_add_f32_e32 v2, v2, v7
	;; [unrolled: 1-line block ×4, first 2 shown]
	s_andn2_b64 exec, exec, s[16:17]
	s_cbranch_execnz .LBB22_7
; %bb.8:
	s_or_b64 exec, exec, s[16:17]
.LBB22_9:
	s_or_b64 exec, exec, s[12:13]
	v_lshl_add_u32 v4, s20, 2, v0
	v_cmp_gt_i32_e32 vcc, s19, v4
	s_and_saveexec_b64 s[12:13], vcc
	s_cbranch_execz .LBB22_13
; %bb.10:
	s_lshl_b64 s[10:11], s[10:11], 1
	s_add_u32 s14, s4, s6
	s_addc_u32 s15, s5, s7
	s_add_u32 s10, s14, s10
	v_ashrrev_i32_e32 v5, 31, v4
	s_addc_u32 s11, s15, s11
	v_lshl_add_u64 v[6:7], v[4:5], 1, s[10:11]
	s_lshl_b32 s10, s18, 1
	s_mov_b32 s11, 0
	s_mov_b64 s[14:15], 0
.LBB22_11:                              ; =>This Inner Loop Header: Depth=1
	global_load_ushort v1, v[6:7], off
	v_add_u32_e32 v4, s18, v4
	v_cmp_le_i32_e32 vcc, s19, v4
	v_lshl_add_u64 v[6:7], v[6:7], 0, s[10:11]
	s_or_b64 s[14:15], vcc, s[14:15]
	s_waitcnt vmcnt(0)
	v_lshlrev_b32_e32 v1, 16, v1
	v_fmac_f32_e32 v3, v1, v1
	s_andn2_b64 exec, exec, s[14:15]
	s_cbranch_execnz .LBB22_11
; %bb.12:
	s_or_b64 exec, exec, s[14:15]
.LBB22_13:
	s_or_b64 exec, exec, s[12:13]
	s_branch .LBB22_20
.LBB22_14:
                                        ; implicit-def: $vgpr3
	s_cbranch_execz .LBB22_20
; %bb.15:
	s_ashr_i32 s14, s3, 2
	v_cmp_gt_i32_e32 vcc, s14, v0
	v_mov_b32_e32 v3, 0
	s_and_saveexec_b64 s[10:11], vcc
	s_cbranch_execz .LBB22_19
; %bb.16:
	s_add_u32 s4, s4, s6
	v_lshlrev_b32_e32 v2, 3, v0
	v_mov_b32_e32 v3, 0
	s_addc_u32 s5, s5, s7
	s_mov_b32 s13, 0
	v_lshl_add_u64 v[4:5], s[4:5], 0, v[2:3]
	s_lshl_b32 s12, s18, 3
	s_mov_b64 s[4:5], 0
	v_mov_b32_e32 v1, v0
.LBB22_17:                              ; =>This Inner Loop Header: Depth=1
	global_load_dwordx2 v[6:7], v[4:5], off
	v_add_u32_e32 v1, s18, v1
	v_cmp_le_i32_e32 vcc, s14, v1
	v_lshl_add_u64 v[4:5], v[4:5], 0, s[12:13]
	s_or_b64 s[4:5], vcc, s[4:5]
	s_waitcnt vmcnt(0)
	v_lshlrev_b32_e32 v8, 16, v6
	v_and_b32_e32 v2, 0xffff0000, v6
	v_alignbit_b32 v6, v7, v6, 16
	v_fmac_f32_e32 v3, v8, v8
	v_and_b32_e32 v6, 0xffff0000, v6
	v_fmac_f32_e32 v3, v2, v2
	v_and_b32_e32 v7, 0xffff0000, v7
	v_fmac_f32_e32 v3, v6, v6
	v_fmac_f32_e32 v3, v7, v7
	s_andn2_b64 exec, exec, s[4:5]
	s_cbranch_execnz .LBB22_17
; %bb.18:
	s_or_b64 exec, exec, s[4:5]
.LBB22_19:
	s_or_b64 exec, exec, s[10:11]
.LBB22_20:
	v_mbcnt_lo_u32_b32 v1, -1, 0
	v_mbcnt_hi_u32_b32 v1, -1, v1
	v_and_b32_e32 v2, 63, v1
	v_cmp_ne_u32_e32 vcc, 63, v2
	v_and_b32_e32 v5, 0x3c0, v0
	v_sub_u32_e64 v5, s18, v5 clamp
	v_addc_co_u32_e32 v4, vcc, 0, v1, vcc
	v_lshlrev_b32_e32 v4, 2, v4
	ds_bpermute_b32 v4, v4, v3
	v_add_u32_e32 v6, 1, v1
	v_cmp_lt_u32_e32 vcc, v6, v5
	v_add_u32_e32 v6, 2, v1
	s_waitcnt lgkmcnt(0)
	v_add_f32_e32 v4, v3, v4
	v_cndmask_b32_e32 v3, v3, v4, vcc
	v_cmp_gt_u32_e32 vcc, 62, v2
	s_nop 1
	v_cndmask_b32_e64 v4, 0, 1, vcc
	v_lshlrev_b32_e32 v4, 1, v4
	v_add_lshl_u32 v4, v4, v1, 2
	ds_bpermute_b32 v4, v4, v3
	v_cmp_lt_u32_e32 vcc, v6, v5
	v_add_u32_e32 v6, 4, v1
	s_waitcnt lgkmcnt(0)
	v_add_f32_e32 v4, v3, v4
	v_cndmask_b32_e32 v3, v3, v4, vcc
	v_cmp_gt_u32_e32 vcc, 60, v2
	s_nop 1
	v_cndmask_b32_e64 v4, 0, 1, vcc
	v_lshlrev_b32_e32 v4, 2, v4
	v_add_lshl_u32 v4, v4, v1, 2
	ds_bpermute_b32 v4, v4, v3
	;; [unrolled: 11-line block ×4, first 2 shown]
	v_cmp_lt_u32_e32 vcc, v6, v5
	s_waitcnt lgkmcnt(0)
	v_add_f32_e32 v4, v3, v4
	v_cndmask_b32_e32 v3, v3, v4, vcc
	v_cmp_gt_u32_e32 vcc, 32, v2
	v_add_u32_e32 v4, 32, v1
	s_nop 0
	v_cndmask_b32_e64 v2, 0, 1, vcc
	v_lshlrev_b32_e32 v2, 5, v2
	v_add_lshl_u32 v2, v2, v1, 2
	ds_bpermute_b32 v2, v2, v3
	v_cmp_lt_u32_e32 vcc, v4, v5
	s_waitcnt lgkmcnt(0)
	v_add_f32_e32 v2, v3, v2
	v_cndmask_b32_e32 v2, v3, v2, vcc
	v_cmp_eq_u32_e32 vcc, 0, v1
	s_and_saveexec_b64 s[4:5], vcc
	s_cbranch_execz .LBB22_22
; %bb.21:
	v_lshrrev_b32_e32 v3, 4, v0
	v_and_b32_e32 v3, 60, v3
	ds_write_b32 v3, v2
.LBB22_22:
	s_or_b64 exec, exec, s[4:5]
	v_cmp_gt_u32_e32 vcc, 16, v0
	s_waitcnt lgkmcnt(0)
	s_barrier
	s_and_saveexec_b64 s[6:7], vcc
	s_cbranch_execz .LBB22_24
; %bb.23:
	v_lshlrev_b32_e32 v2, 2, v1
	ds_read_b32 v2, v2
	v_and_b32_e32 v3, 15, v1
	v_cmp_ne_u32_e32 vcc, 15, v3
	s_add_i32 s4, s18, 63
	s_lshr_b32 s10, s4, 6
	v_addc_co_u32_e32 v4, vcc, 0, v1, vcc
	v_lshlrev_b32_e32 v4, 2, v4
	s_waitcnt lgkmcnt(0)
	ds_bpermute_b32 v4, v4, v2
	v_add_u32_e32 v5, 1, v3
	v_cmp_gt_u32_e64 s[4:5], 14, v3
	v_cmp_gt_u32_e32 vcc, s10, v5
	v_add_u32_e32 v6, 2, v3
	v_cndmask_b32_e64 v5, 0, 1, s[4:5]
	s_waitcnt lgkmcnt(0)
	v_add_f32_e32 v4, v2, v4
	v_lshlrev_b32_e32 v5, 1, v5
	v_cndmask_b32_e32 v4, v2, v4, vcc
	v_add_lshl_u32 v5, v5, v1, 2
	ds_bpermute_b32 v5, v5, v4
	v_cmp_gt_u32_e64 s[4:5], s10, v6
	v_add_u32_e32 v6, 4, v3
	s_waitcnt lgkmcnt(0)
	v_add_f32_e32 v5, v4, v5
	v_cndmask_b32_e64 v4, v4, v5, s[4:5]
	v_cmp_gt_u32_e64 s[4:5], 12, v3
	s_nop 1
	v_cndmask_b32_e64 v5, 0, 1, s[4:5]
	v_lshlrev_b32_e32 v5, 2, v5
	v_add_lshl_u32 v5, v5, v1, 2
	ds_bpermute_b32 v5, v5, v4
	v_cmp_gt_u32_e64 s[4:5], s10, v6
	s_waitcnt lgkmcnt(0)
	v_add_f32_e32 v5, v4, v5
	v_cndmask_b32_e64 v4, v4, v5, s[4:5]
	v_cmp_gt_u32_e64 s[4:5], 8, v3
	v_add_u32_e32 v3, 8, v3
	s_nop 0
	v_cndmask_b32_e64 v5, 0, 1, s[4:5]
	v_lshlrev_b32_e32 v5, 3, v5
	v_add_lshl_u32 v1, v5, v1, 2
	ds_bpermute_b32 v1, v1, v4
	v_cmp_gt_u32_e64 s[4:5], s10, v3
	s_waitcnt lgkmcnt(0)
	v_add_f32_e32 v1, v4, v1
	v_cndmask_b32_e64 v1, v4, v1, s[4:5]
	v_cndmask_b32_e32 v2, v2, v1, vcc
.LBB22_24:
	s_or_b64 exec, exec, s[6:7]
	v_cmp_eq_u32_e32 vcc, 0, v0
	s_and_saveexec_b64 s[4:5], vcc
	s_cbranch_execz .LBB22_26
; %bb.25:
	v_cvt_f32_i32_e32 v1, s3
	s_load_dword s10, s[0:1], 0x28
	v_div_scale_f32 v3, s[6:7], v1, v1, v2
	v_rcp_f32_e32 v4, v3
	v_div_scale_f32 v5, vcc, v2, v1, v2
	s_mov_b32 s6, 0x800000
	v_fma_f32 v6, -v3, v4, 1.0
	v_fmac_f32_e32 v4, v6, v4
	v_mul_f32_e32 v6, v5, v4
	v_fma_f32 v7, -v3, v6, v5
	v_fmac_f32_e32 v6, v7, v4
	v_fma_f32 v3, -v3, v6, v5
	v_div_fmas_f32 v3, v3, v4, v6
	v_div_fixup_f32 v1, v3, v1, v2
	s_waitcnt lgkmcnt(0)
	v_add_f32_e32 v1, s10, v1
	v_mul_f32_e32 v2, 0x4b800000, v1
	v_cmp_gt_f32_e32 vcc, s6, v1
	s_nop 1
	v_cndmask_b32_e32 v1, v1, v2, vcc
	v_rsq_f32_e32 v1, v1
	s_nop 0
	v_mul_f32_e32 v2, 0x45800000, v1
	v_cndmask_b32_e32 v1, v1, v2, vcc
	v_mov_b32_e32 v2, 0
	ds_write_b32 v2, v1 offset:64
.LBB22_26:
	s_or_b64 exec, exec, s[4:5]
	s_ashr_i32 s4, s3, 31
	s_lshr_b32 s4, s4, 30
	s_add_i32 s4, s3, s4
	s_ashr_i32 s14, s4, 2
	v_cmp_gt_i32_e32 vcc, s14, v0
	s_waitcnt lgkmcnt(0)
	s_barrier
	s_and_saveexec_b64 s[4:5], vcc
	s_cbranch_execz .LBB22_53
; %bb.27:
	s_load_dwordx4 s[4:7], s[0:1], 0x18
	s_load_dwordx2 s[10:11], s[0:1], 0x0
	s_mul_i32 s2, s2, s3
	v_mov_b32_e32 v3, 0
	ds_read_b32 v1, v3 offset:64
	s_waitcnt lgkmcnt(0)
	s_load_dword s3, s[6:7], 0x0
	s_lshl_b32 s15, s18, 2
	v_lshlrev_b32_e32 v2, 3, v0
	v_lshl_add_u32 v8, v0, 2, s2
	s_movk_i32 s16, 0x7fff
	s_waitcnt lgkmcnt(0)
	v_div_scale_f32 v4, s[0:1], s3, s3, 1.0
	v_rcp_f32_e32 v5, v4
	v_div_scale_f32 v6, vcc, 1.0, s3, 1.0
	s_mov_b32 s1, 0
	v_fma_f32 v7, -v4, v5, 1.0
	v_fmac_f32_e32 v5, v7, v5
	v_mul_f32_e32 v7, v6, v5
	v_fma_f32 v9, -v4, v7, v6
	v_fmac_f32_e32 v7, v9, v5
	v_fma_f32 v4, -v4, v7, v6
	v_div_fmas_f32 v4, v4, v5, v7
	v_div_fixup_f32 v9, v4, s3, 1.0
	s_lshl_b32 s0, s18, 3
	s_mov_b64 s[2:3], 0
	v_mov_b32_e32 v10, 0x7fc00000
	s_mov_b32 s17, 0x43f00000
	s_mov_b32 s19, 0x3c7fffff
	;; [unrolled: 1-line block ×4, first 2 shown]
	s_movk_i32 s22, 0x80
	s_branch .LBB22_30
.LBB22_28:                              ;   in Loop: Header=BB22_30 Depth=1
	s_or_b64 exec, exec, s[12:13]
.LBB22_29:                              ;   in Loop: Header=BB22_30 Depth=1
	s_or_b64 exec, exec, s[6:7]
	v_add_u32_e32 v0, s18, v0
	v_lshrrev_b32_e32 v5, 24, v5
	v_cmp_le_i32_e32 vcc, s14, v0
	v_and_or_b32 v4, v5, s22, v4
	v_add_u32_e32 v5, 3, v8
	v_add_u32_e32 v8, s15, v8
	s_or_b64 s[2:3], vcc, s[2:3]
	v_lshl_add_u64 v[2:3], v[2:3], 0, s[0:1]
	global_store_byte v5, v4, s[10:11]
	s_andn2_b64 exec, exec, s[2:3]
	s_cbranch_execz .LBB22_53
.LBB22_30:                              ; =>This Inner Loop Header: Depth=1
	v_lshl_add_u64 v[4:5], s[8:9], 0, v[2:3]
	global_load_dwordx2 v[6:7], v[4:5], off
	v_lshl_add_u64 v[4:5], s[4:5], 0, v[2:3]
	global_load_dwordx2 v[4:5], v[4:5], off
	v_mov_b32_e32 v11, 0x7f
	s_waitcnt vmcnt(1)
	v_lshlrev_b32_e32 v12, 16, v6
	v_mul_f32_e32 v12, v1, v12
	v_bfe_u32 v14, v12, 16, 1
	v_add3_u32 v14, v12, v14, s16
	v_and_b32_e32 v14, 0xffff0000, v14
	v_cmp_o_f32_e32 vcc, v12, v12
	s_waitcnt vmcnt(0)
	v_lshlrev_b32_e32 v13, 16, v4
	v_cndmask_b32_e32 v12, v10, v14, vcc
	v_mul_f32_e32 v12, v12, v13
	v_bfe_u32 v13, v12, 16, 1
	v_add3_u32 v13, v12, v13, s16
	v_and_b32_e32 v13, 0xffff0000, v13
	v_cmp_o_f32_e32 vcc, v12, v12
	s_nop 1
	v_cndmask_b32_e32 v12, v10, v13, vcc
	v_mul_f32_e32 v12, v9, v12
	v_min_f32_e32 v12, 0x43e00000, v12
	v_max_f32_e32 v12, 0xc3e00000, v12
	v_and_b32_e32 v14, 0x7fffffff, v12
	v_cmp_gt_u32_e32 vcc, s17, v14
	v_mov_b32_e32 v13, 0x7f
	s_and_saveexec_b64 s[6:7], vcc
	s_cbranch_execz .LBB22_36
; %bb.31:                               ;   in Loop: Header=BB22_30 Depth=1
	v_cmp_lt_u32_e32 vcc, s19, v14
                                        ; implicit-def: $vgpr13
	s_and_saveexec_b64 s[12:13], vcc
	s_xor_b64 s[12:13], exec, s[12:13]
; %bb.32:                               ;   in Loop: Header=BB22_30 Depth=1
	v_bfe_u32 v13, v12, 20, 1
	v_add3_u32 v13, v12, v13, s20
	v_lshrrev_b32_e32 v13, 20, v13
; %bb.33:                               ;   in Loop: Header=BB22_30 Depth=1
	s_andn2_saveexec_b64 s[12:13], s[12:13]
; %bb.34:                               ;   in Loop: Header=BB22_30 Depth=1
	v_add_f32_e64 v13, |v12|, s21
; %bb.35:                               ;   in Loop: Header=BB22_30 Depth=1
	s_or_b64 exec, exec, s[12:13]
.LBB22_36:                              ;   in Loop: Header=BB22_30 Depth=1
	s_or_b64 exec, exec, s[6:7]
	v_lshrrev_b32_e32 v12, 24, v12
	v_and_b32_e32 v14, 0xffff0000, v6
	v_and_or_b32 v12, v12, s22, v13
	global_store_byte v8, v12, s[10:11]
	v_mul_f32_e32 v12, v1, v14
	v_bfe_u32 v13, v12, 16, 1
	v_add3_u32 v13, v12, v13, s16
	v_and_b32_e32 v13, 0xffff0000, v13
	v_cmp_o_f32_e32 vcc, v12, v12
	v_and_b32_e32 v15, 0xffff0000, v4
	s_nop 0
	v_cndmask_b32_e32 v12, v10, v13, vcc
	v_mul_f32_e32 v12, v12, v15
	v_bfe_u32 v13, v12, 16, 1
	v_add3_u32 v13, v12, v13, s16
	v_and_b32_e32 v13, 0xffff0000, v13
	v_cmp_o_f32_e32 vcc, v12, v12
	s_nop 1
	v_cndmask_b32_e32 v12, v10, v13, vcc
	v_mul_f32_e32 v12, v9, v12
	v_min_f32_e32 v12, 0x43e00000, v12
	v_max_f32_e32 v12, 0xc3e00000, v12
	v_and_b32_e32 v13, 0x7fffffff, v12
	v_cmp_gt_u32_e32 vcc, s17, v13
	s_and_saveexec_b64 s[6:7], vcc
	s_cbranch_execz .LBB22_42
; %bb.37:                               ;   in Loop: Header=BB22_30 Depth=1
	v_cmp_lt_u32_e32 vcc, s19, v13
                                        ; implicit-def: $vgpr11
	s_and_saveexec_b64 s[12:13], vcc
	s_xor_b64 s[12:13], exec, s[12:13]
; %bb.38:                               ;   in Loop: Header=BB22_30 Depth=1
	v_bfe_u32 v11, v12, 20, 1
	v_add3_u32 v11, v12, v11, s20
	v_lshrrev_b32_e32 v11, 20, v11
; %bb.39:                               ;   in Loop: Header=BB22_30 Depth=1
	s_andn2_saveexec_b64 s[12:13], s[12:13]
; %bb.40:                               ;   in Loop: Header=BB22_30 Depth=1
	v_add_f32_e64 v11, |v12|, s21
; %bb.41:                               ;   in Loop: Header=BB22_30 Depth=1
	s_or_b64 exec, exec, s[12:13]
.LBB22_42:                              ;   in Loop: Header=BB22_30 Depth=1
	s_or_b64 exec, exec, s[6:7]
	v_alignbit_b32 v6, v7, v6, 16
	v_lshrrev_b32_e32 v12, 24, v12
	v_and_b32_e32 v6, 0xffff0000, v6
	v_and_or_b32 v11, v12, s22, v11
	v_add_u32_e32 v12, 1, v8
	v_mul_f32_e32 v6, v1, v6
	global_store_byte v12, v11, s[10:11]
	v_bfe_u32 v11, v6, 16, 1
	v_add3_u32 v11, v6, v11, s16
	v_and_b32_e32 v11, 0xffff0000, v11
	v_cmp_o_f32_e32 vcc, v6, v6
	v_alignbit_b32 v4, v5, v4, 16
	v_and_b32_e32 v4, 0xffff0000, v4
	v_cndmask_b32_e32 v6, v10, v11, vcc
	v_mul_f32_e32 v4, v6, v4
	v_bfe_u32 v6, v4, 16, 1
	v_add3_u32 v6, v4, v6, s16
	v_and_b32_e32 v6, 0xffff0000, v6
	v_cmp_o_f32_e32 vcc, v4, v4
	v_mov_b32_e32 v11, 0x7f
	s_nop 0
	v_cndmask_b32_e32 v4, v10, v6, vcc
	v_mul_f32_e32 v4, v9, v4
	v_min_f32_e32 v4, 0x43e00000, v4
	v_max_f32_e32 v6, 0xc3e00000, v4
	v_and_b32_e32 v12, 0x7fffffff, v6
	v_cmp_gt_u32_e32 vcc, s17, v12
	v_mov_b32_e32 v4, 0x7f
	s_and_saveexec_b64 s[6:7], vcc
	s_cbranch_execz .LBB22_48
; %bb.43:                               ;   in Loop: Header=BB22_30 Depth=1
	v_cmp_lt_u32_e32 vcc, s19, v12
                                        ; implicit-def: $vgpr11
	s_and_saveexec_b64 s[12:13], vcc
	s_xor_b64 s[12:13], exec, s[12:13]
; %bb.44:                               ;   in Loop: Header=BB22_30 Depth=1
	v_bfe_u32 v11, v6, 20, 1
	v_add3_u32 v11, v6, v11, s20
	v_lshrrev_b32_e32 v11, 20, v11
; %bb.45:                               ;   in Loop: Header=BB22_30 Depth=1
	s_andn2_saveexec_b64 s[12:13], s[12:13]
; %bb.46:                               ;   in Loop: Header=BB22_30 Depth=1
	v_add_f32_e64 v11, |v6|, s21
; %bb.47:                               ;   in Loop: Header=BB22_30 Depth=1
	s_or_b64 exec, exec, s[12:13]
.LBB22_48:                              ;   in Loop: Header=BB22_30 Depth=1
	s_or_b64 exec, exec, s[6:7]
	v_lshrrev_b32_e32 v6, 24, v6
	v_and_or_b32 v6, v6, s22, v11
	v_add_u32_e32 v11, 2, v8
	global_store_byte v11, v6, s[10:11]
	v_and_b32_e32 v6, 0xffff0000, v7
	v_mul_f32_e32 v6, v1, v6
	v_bfe_u32 v7, v6, 16, 1
	v_add3_u32 v7, v6, v7, s16
	v_and_b32_e32 v7, 0xffff0000, v7
	v_cmp_o_f32_e32 vcc, v6, v6
	v_and_b32_e32 v5, 0xffff0000, v5
	s_nop 0
	v_cndmask_b32_e32 v6, v10, v7, vcc
	v_mul_f32_e32 v5, v6, v5
	v_bfe_u32 v6, v5, 16, 1
	v_add3_u32 v6, v5, v6, s16
	v_and_b32_e32 v6, 0xffff0000, v6
	v_cmp_o_f32_e32 vcc, v5, v5
	s_nop 1
	v_cndmask_b32_e32 v5, v10, v6, vcc
	v_mul_f32_e32 v5, v9, v5
	v_min_f32_e32 v5, 0x43e00000, v5
	v_max_f32_e32 v5, 0xc3e00000, v5
	v_and_b32_e32 v6, 0x7fffffff, v5
	v_cmp_gt_u32_e32 vcc, s17, v6
	s_and_saveexec_b64 s[6:7], vcc
	s_cbranch_execz .LBB22_29
; %bb.49:                               ;   in Loop: Header=BB22_30 Depth=1
	v_cmp_lt_u32_e32 vcc, s19, v6
                                        ; implicit-def: $vgpr4
	s_and_saveexec_b64 s[12:13], vcc
	s_xor_b64 s[12:13], exec, s[12:13]
; %bb.50:                               ;   in Loop: Header=BB22_30 Depth=1
	v_bfe_u32 v4, v5, 20, 1
	v_add3_u32 v4, v5, v4, s20
	v_lshrrev_b32_e32 v4, 20, v4
; %bb.51:                               ;   in Loop: Header=BB22_30 Depth=1
	s_andn2_saveexec_b64 s[12:13], s[12:13]
	s_cbranch_execz .LBB22_28
; %bb.52:                               ;   in Loop: Header=BB22_30 Depth=1
	v_add_f32_e64 v4, |v5|, s21
	s_branch .LBB22_28
.LBB22_53:
	s_endpgm
	.section	.rodata,"a",@progbits
	.p2align	6, 0x0
	.amdhsa_kernel _ZN4vllm32rms_norm_static_fp8_quant_kernelIN3c108BFloat16ENS1_13Float8_e4m3fnELi4EEEvPT0_PKT_iS8_PKffii
		.amdhsa_group_segment_fixed_size 68
		.amdhsa_private_segment_fixed_size 0
		.amdhsa_kernarg_size 312
		.amdhsa_user_sgpr_count 2
		.amdhsa_user_sgpr_dispatch_ptr 0
		.amdhsa_user_sgpr_queue_ptr 0
		.amdhsa_user_sgpr_kernarg_segment_ptr 1
		.amdhsa_user_sgpr_dispatch_id 0
		.amdhsa_user_sgpr_kernarg_preload_length 0
		.amdhsa_user_sgpr_kernarg_preload_offset 0
		.amdhsa_user_sgpr_private_segment_size 0
		.amdhsa_uses_dynamic_stack 0
		.amdhsa_enable_private_segment 0
		.amdhsa_system_sgpr_workgroup_id_x 1
		.amdhsa_system_sgpr_workgroup_id_y 0
		.amdhsa_system_sgpr_workgroup_id_z 0
		.amdhsa_system_sgpr_workgroup_info 0
		.amdhsa_system_vgpr_workitem_id 0
		.amdhsa_next_free_vgpr 16
		.amdhsa_next_free_sgpr 23
		.amdhsa_accum_offset 16
		.amdhsa_reserve_vcc 1
		.amdhsa_float_round_mode_32 0
		.amdhsa_float_round_mode_16_64 0
		.amdhsa_float_denorm_mode_32 3
		.amdhsa_float_denorm_mode_16_64 3
		.amdhsa_dx10_clamp 1
		.amdhsa_ieee_mode 1
		.amdhsa_fp16_overflow 0
		.amdhsa_tg_split 0
		.amdhsa_exception_fp_ieee_invalid_op 0
		.amdhsa_exception_fp_denorm_src 0
		.amdhsa_exception_fp_ieee_div_zero 0
		.amdhsa_exception_fp_ieee_overflow 0
		.amdhsa_exception_fp_ieee_underflow 0
		.amdhsa_exception_fp_ieee_inexact 0
		.amdhsa_exception_int_div_zero 0
	.end_amdhsa_kernel
	.section	.text._ZN4vllm32rms_norm_static_fp8_quant_kernelIN3c108BFloat16ENS1_13Float8_e4m3fnELi4EEEvPT0_PKT_iS8_PKffii,"axG",@progbits,_ZN4vllm32rms_norm_static_fp8_quant_kernelIN3c108BFloat16ENS1_13Float8_e4m3fnELi4EEEvPT0_PKT_iS8_PKffii,comdat
.Lfunc_end22:
	.size	_ZN4vllm32rms_norm_static_fp8_quant_kernelIN3c108BFloat16ENS1_13Float8_e4m3fnELi4EEEvPT0_PKT_iS8_PKffii, .Lfunc_end22-_ZN4vllm32rms_norm_static_fp8_quant_kernelIN3c108BFloat16ENS1_13Float8_e4m3fnELi4EEEvPT0_PKT_iS8_PKffii
                                        ; -- End function
	.section	.AMDGPU.csdata,"",@progbits
; Kernel info:
; codeLenInByte = 2764
; NumSgprs: 29
; NumVgprs: 16
; NumAgprs: 0
; TotalNumVgprs: 16
; ScratchSize: 0
; MemoryBound: 0
; FloatMode: 240
; IeeeMode: 1
; LDSByteSize: 68 bytes/workgroup (compile time only)
; SGPRBlocks: 3
; VGPRBlocks: 1
; NumSGPRsForWavesPerEU: 29
; NumVGPRsForWavesPerEU: 16
; AccumOffset: 16
; Occupancy: 8
; WaveLimiterHint : 0
; COMPUTE_PGM_RSRC2:SCRATCH_EN: 0
; COMPUTE_PGM_RSRC2:USER_SGPR: 2
; COMPUTE_PGM_RSRC2:TRAP_HANDLER: 0
; COMPUTE_PGM_RSRC2:TGID_X_EN: 1
; COMPUTE_PGM_RSRC2:TGID_Y_EN: 0
; COMPUTE_PGM_RSRC2:TGID_Z_EN: 0
; COMPUTE_PGM_RSRC2:TIDIG_COMP_CNT: 0
; COMPUTE_PGM_RSRC3_GFX90A:ACCUM_OFFSET: 3
; COMPUTE_PGM_RSRC3_GFX90A:TG_SPLIT: 0
	.section	.text._ZN4vllm32rms_norm_static_fp8_quant_kernelIN3c108BFloat16ENS1_13Float8_e4m3fnELi2EEEvPT0_PKT_iS8_PKffii,"axG",@progbits,_ZN4vllm32rms_norm_static_fp8_quant_kernelIN3c108BFloat16ENS1_13Float8_e4m3fnELi2EEEvPT0_PKT_iS8_PKffii,comdat
	.protected	_ZN4vllm32rms_norm_static_fp8_quant_kernelIN3c108BFloat16ENS1_13Float8_e4m3fnELi2EEEvPT0_PKT_iS8_PKffii ; -- Begin function _ZN4vllm32rms_norm_static_fp8_quant_kernelIN3c108BFloat16ENS1_13Float8_e4m3fnELi2EEEvPT0_PKT_iS8_PKffii
	.globl	_ZN4vllm32rms_norm_static_fp8_quant_kernelIN3c108BFloat16ENS1_13Float8_e4m3fnELi2EEEvPT0_PKT_iS8_PKffii
	.p2align	8
	.type	_ZN4vllm32rms_norm_static_fp8_quant_kernelIN3c108BFloat16ENS1_13Float8_e4m3fnELi2EEEvPT0_PKT_iS8_PKffii,@function
_ZN4vllm32rms_norm_static_fp8_quant_kernelIN3c108BFloat16ENS1_13Float8_e4m3fnELi2EEEvPT0_PKT_iS8_PKffii: ; @_ZN4vllm32rms_norm_static_fp8_quant_kernelIN3c108BFloat16ENS1_13Float8_e4m3fnELi2EEEvPT0_PKT_iS8_PKffii
; %bb.0:
	s_load_dword s6, s[0:1], 0x10
	s_load_dwordx2 s[4:5], s[0:1], 0x8
	s_load_dword s3, s[0:1], 0x30
	s_load_dword s12, s[0:1], 0x44
	s_mov_b32 s11, 0
	s_waitcnt lgkmcnt(0)
	s_mul_i32 s10, s2, s6
	s_lshl_b64 s[6:7], s[10:11], 1
	s_add_u32 s8, s4, s6
	s_addc_u32 s9, s5, s7
	s_and_b32 s18, s12, 0xffff
	s_and_b32 s10, s8, 3
	s_cmp_lg_u64 s[10:11], 0
	s_cselect_b64 s[10:11], -1, 0
	s_bitcmp1_b32 s3, 0
	s_cselect_b64 s[12:13], -1, 0
	s_or_b64 s[10:11], s[10:11], s[12:13]
	s_and_b64 vcc, exec, s[10:11]
	s_cbranch_vccz .LBB23_13
; %bb.1:
	s_sub_i32 s10, 0, s8
	s_bfe_u32 s10, s10, 0x10001
	s_min_i32 s10, s10, s3
	v_cmp_gt_i32_e32 vcc, s10, v0
	v_mov_b32_e32 v3, 0
	s_and_saveexec_b64 s[12:13], vcc
	s_cbranch_execz .LBB23_4
; %bb.2:
	s_lshl_b32 s11, s18, 1
	s_mov_b32 s16, 0
	v_mov_b32_e32 v1, 0
	s_mov_b64 s[14:15], s[8:9]
	v_mov_b32_e32 v3, 0
.LBB23_3:                               ; =>This Inner Loop Header: Depth=1
	global_load_ushort v2, v1, s[14:15]
	s_add_i32 s16, s16, s18
	s_add_u32 s14, s14, s11
	s_addc_u32 s15, s15, 0
	s_cmp_ge_i32 s16, s10
	s_waitcnt vmcnt(0)
	v_lshlrev_b32_e32 v2, 16, v2
	v_fmac_f32_e32 v3, v2, v2
	s_cbranch_scc0 .LBB23_3
.LBB23_4:
	s_or_b64 exec, exec, s[12:13]
	s_sub_i32 s19, s3, s10
	s_lshr_b32 s12, s19, 31
	s_add_i32 s12, s19, s12
	s_ashr_i32 s20, s12, 1
	s_ashr_i32 s11, s10, 31
	v_cmp_gt_i32_e32 vcc, s20, v0
	s_and_saveexec_b64 s[12:13], vcc
	s_cbranch_execz .LBB23_8
; %bb.5:
	s_lshl_b64 s[16:17], s[10:11], 1
	s_add_u32 s14, s4, s6
	s_addc_u32 s21, s5, s7
	s_add_u32 s16, s14, s16
	v_lshlrev_b32_e32 v4, 2, v0
	v_mov_b32_e32 v5, 0
	s_addc_u32 s17, s21, s17
	s_mov_b32 s15, 0
	v_lshl_add_u64 v[4:5], s[16:17], 0, v[4:5]
	s_lshl_b32 s14, s18, 2
	s_mov_b64 s[16:17], 0
	v_mov_b32_e32 v1, v0
.LBB23_6:                               ; =>This Inner Loop Header: Depth=1
	global_load_dword v2, v[4:5], off
	v_add_u32_e32 v1, s18, v1
	v_cmp_le_i32_e32 vcc, s20, v1
	v_lshl_add_u64 v[4:5], v[4:5], 0, s[14:15]
	s_or_b64 s[16:17], vcc, s[16:17]
	s_waitcnt vmcnt(0)
	v_and_b32_e32 v7, 0xffff0000, v2
	v_lshlrev_b32_e32 v6, 16, v2
	v_pk_mul_f32 v[6:7], v[6:7], v[6:7]
	s_nop 0
	v_add_f32_e32 v2, v3, v6
	v_add_f32_e32 v3, v2, v7
	s_andn2_b64 exec, exec, s[16:17]
	s_cbranch_execnz .LBB23_6
; %bb.7:
	s_or_b64 exec, exec, s[16:17]
.LBB23_8:
	s_or_b64 exec, exec, s[12:13]
	v_lshl_add_u32 v4, s20, 1, v0
	v_cmp_gt_i32_e32 vcc, s19, v4
	s_and_saveexec_b64 s[12:13], vcc
	s_cbranch_execz .LBB23_12
; %bb.9:
	s_lshl_b64 s[10:11], s[10:11], 1
	s_add_u32 s14, s4, s6
	s_addc_u32 s15, s5, s7
	s_add_u32 s10, s14, s10
	v_ashrrev_i32_e32 v5, 31, v4
	s_addc_u32 s11, s15, s11
	v_lshl_add_u64 v[6:7], v[4:5], 1, s[10:11]
	s_lshl_b32 s10, s18, 1
	s_mov_b32 s11, 0
	s_mov_b64 s[14:15], 0
.LBB23_10:                              ; =>This Inner Loop Header: Depth=1
	global_load_ushort v1, v[6:7], off
	v_add_u32_e32 v4, s18, v4
	v_cmp_le_i32_e32 vcc, s19, v4
	v_lshl_add_u64 v[6:7], v[6:7], 0, s[10:11]
	s_or_b64 s[14:15], vcc, s[14:15]
	s_waitcnt vmcnt(0)
	v_lshlrev_b32_e32 v1, 16, v1
	v_fmac_f32_e32 v3, v1, v1
	s_andn2_b64 exec, exec, s[14:15]
	s_cbranch_execnz .LBB23_10
; %bb.11:
	s_or_b64 exec, exec, s[14:15]
.LBB23_12:
	s_or_b64 exec, exec, s[12:13]
	s_branch .LBB23_19
.LBB23_13:
                                        ; implicit-def: $vgpr3
	s_cbranch_execz .LBB23_19
; %bb.14:
	s_ashr_i32 s14, s3, 1
	v_cmp_gt_i32_e32 vcc, s14, v0
	v_mov_b32_e32 v3, 0
	s_and_saveexec_b64 s[10:11], vcc
	s_cbranch_execz .LBB23_18
; %bb.15:
	s_add_u32 s4, s4, s6
	v_lshlrev_b32_e32 v2, 2, v0
	v_mov_b32_e32 v3, 0
	s_addc_u32 s5, s5, s7
	s_mov_b32 s13, 0
	v_lshl_add_u64 v[4:5], s[4:5], 0, v[2:3]
	s_lshl_b32 s12, s18, 2
	s_mov_b64 s[4:5], 0
	v_mov_b32_e32 v1, v0
.LBB23_16:                              ; =>This Inner Loop Header: Depth=1
	global_load_dword v2, v[4:5], off
	v_add_u32_e32 v1, s18, v1
	v_cmp_le_i32_e32 vcc, s14, v1
	v_lshl_add_u64 v[4:5], v[4:5], 0, s[12:13]
	s_or_b64 s[4:5], vcc, s[4:5]
	s_waitcnt vmcnt(0)
	v_and_b32_e32 v6, 0xffff0000, v2
	v_lshlrev_b32_e32 v7, 16, v2
	v_pk_mul_f32 v[6:7], v[6:7], v[6:7]
	s_nop 0
	v_add_f32_e32 v2, v3, v7
	v_add_f32_e32 v3, v6, v2
	s_andn2_b64 exec, exec, s[4:5]
	s_cbranch_execnz .LBB23_16
; %bb.17:
	s_or_b64 exec, exec, s[4:5]
.LBB23_18:
	s_or_b64 exec, exec, s[10:11]
.LBB23_19:
	v_mbcnt_lo_u32_b32 v1, -1, 0
	v_mbcnt_hi_u32_b32 v1, -1, v1
	v_and_b32_e32 v2, 63, v1
	v_cmp_ne_u32_e32 vcc, 63, v2
	v_and_b32_e32 v5, 0x3c0, v0
	v_sub_u32_e64 v5, s18, v5 clamp
	v_addc_co_u32_e32 v4, vcc, 0, v1, vcc
	v_lshlrev_b32_e32 v4, 2, v4
	ds_bpermute_b32 v4, v4, v3
	v_add_u32_e32 v6, 1, v1
	v_cmp_lt_u32_e32 vcc, v6, v5
	v_add_u32_e32 v6, 2, v1
	s_waitcnt lgkmcnt(0)
	v_add_f32_e32 v4, v3, v4
	v_cndmask_b32_e32 v3, v3, v4, vcc
	v_cmp_gt_u32_e32 vcc, 62, v2
	s_nop 1
	v_cndmask_b32_e64 v4, 0, 1, vcc
	v_lshlrev_b32_e32 v4, 1, v4
	v_add_lshl_u32 v4, v4, v1, 2
	ds_bpermute_b32 v4, v4, v3
	v_cmp_lt_u32_e32 vcc, v6, v5
	v_add_u32_e32 v6, 4, v1
	s_waitcnt lgkmcnt(0)
	v_add_f32_e32 v4, v3, v4
	v_cndmask_b32_e32 v3, v3, v4, vcc
	v_cmp_gt_u32_e32 vcc, 60, v2
	s_nop 1
	v_cndmask_b32_e64 v4, 0, 1, vcc
	v_lshlrev_b32_e32 v4, 2, v4
	v_add_lshl_u32 v4, v4, v1, 2
	ds_bpermute_b32 v4, v4, v3
	;; [unrolled: 11-line block ×4, first 2 shown]
	v_cmp_lt_u32_e32 vcc, v6, v5
	s_waitcnt lgkmcnt(0)
	v_add_f32_e32 v4, v3, v4
	v_cndmask_b32_e32 v3, v3, v4, vcc
	v_cmp_gt_u32_e32 vcc, 32, v2
	v_add_u32_e32 v4, 32, v1
	s_nop 0
	v_cndmask_b32_e64 v2, 0, 1, vcc
	v_lshlrev_b32_e32 v2, 5, v2
	v_add_lshl_u32 v2, v2, v1, 2
	ds_bpermute_b32 v2, v2, v3
	v_cmp_lt_u32_e32 vcc, v4, v5
	s_waitcnt lgkmcnt(0)
	v_add_f32_e32 v2, v3, v2
	v_cndmask_b32_e32 v2, v3, v2, vcc
	v_cmp_eq_u32_e32 vcc, 0, v1
	s_and_saveexec_b64 s[4:5], vcc
	s_cbranch_execz .LBB23_21
; %bb.20:
	v_lshrrev_b32_e32 v3, 4, v0
	v_and_b32_e32 v3, 60, v3
	ds_write_b32 v3, v2
.LBB23_21:
	s_or_b64 exec, exec, s[4:5]
	v_cmp_gt_u32_e32 vcc, 16, v0
	s_waitcnt lgkmcnt(0)
	s_barrier
	s_and_saveexec_b64 s[6:7], vcc
	s_cbranch_execz .LBB23_23
; %bb.22:
	v_lshlrev_b32_e32 v2, 2, v1
	ds_read_b32 v2, v2
	v_and_b32_e32 v3, 15, v1
	v_cmp_ne_u32_e32 vcc, 15, v3
	s_add_i32 s4, s18, 63
	s_lshr_b32 s10, s4, 6
	v_addc_co_u32_e32 v4, vcc, 0, v1, vcc
	v_lshlrev_b32_e32 v4, 2, v4
	s_waitcnt lgkmcnt(0)
	ds_bpermute_b32 v4, v4, v2
	v_add_u32_e32 v5, 1, v3
	v_cmp_gt_u32_e64 s[4:5], 14, v3
	v_cmp_gt_u32_e32 vcc, s10, v5
	v_add_u32_e32 v6, 2, v3
	v_cndmask_b32_e64 v5, 0, 1, s[4:5]
	s_waitcnt lgkmcnt(0)
	v_add_f32_e32 v4, v2, v4
	v_lshlrev_b32_e32 v5, 1, v5
	v_cndmask_b32_e32 v4, v2, v4, vcc
	v_add_lshl_u32 v5, v5, v1, 2
	ds_bpermute_b32 v5, v5, v4
	v_cmp_gt_u32_e64 s[4:5], s10, v6
	v_add_u32_e32 v6, 4, v3
	s_waitcnt lgkmcnt(0)
	v_add_f32_e32 v5, v4, v5
	v_cndmask_b32_e64 v4, v4, v5, s[4:5]
	v_cmp_gt_u32_e64 s[4:5], 12, v3
	s_nop 1
	v_cndmask_b32_e64 v5, 0, 1, s[4:5]
	v_lshlrev_b32_e32 v5, 2, v5
	v_add_lshl_u32 v5, v5, v1, 2
	ds_bpermute_b32 v5, v5, v4
	v_cmp_gt_u32_e64 s[4:5], s10, v6
	s_waitcnt lgkmcnt(0)
	v_add_f32_e32 v5, v4, v5
	v_cndmask_b32_e64 v4, v4, v5, s[4:5]
	v_cmp_gt_u32_e64 s[4:5], 8, v3
	v_add_u32_e32 v3, 8, v3
	s_nop 0
	v_cndmask_b32_e64 v5, 0, 1, s[4:5]
	v_lshlrev_b32_e32 v5, 3, v5
	v_add_lshl_u32 v1, v5, v1, 2
	ds_bpermute_b32 v1, v1, v4
	v_cmp_gt_u32_e64 s[4:5], s10, v3
	s_waitcnt lgkmcnt(0)
	v_add_f32_e32 v1, v4, v1
	v_cndmask_b32_e64 v1, v4, v1, s[4:5]
	v_cndmask_b32_e32 v2, v2, v1, vcc
.LBB23_23:
	s_or_b64 exec, exec, s[6:7]
	v_cmp_eq_u32_e32 vcc, 0, v0
	s_and_saveexec_b64 s[4:5], vcc
	s_cbranch_execz .LBB23_25
; %bb.24:
	v_cvt_f32_i32_e32 v1, s3
	s_load_dword s10, s[0:1], 0x28
	v_div_scale_f32 v3, s[6:7], v1, v1, v2
	v_rcp_f32_e32 v4, v3
	v_div_scale_f32 v5, vcc, v2, v1, v2
	s_mov_b32 s6, 0x800000
	v_fma_f32 v6, -v3, v4, 1.0
	v_fmac_f32_e32 v4, v6, v4
	v_mul_f32_e32 v6, v5, v4
	v_fma_f32 v7, -v3, v6, v5
	v_fmac_f32_e32 v6, v7, v4
	v_fma_f32 v3, -v3, v6, v5
	v_div_fmas_f32 v3, v3, v4, v6
	v_div_fixup_f32 v1, v3, v1, v2
	s_waitcnt lgkmcnt(0)
	v_add_f32_e32 v1, s10, v1
	v_mul_f32_e32 v2, 0x4b800000, v1
	v_cmp_gt_f32_e32 vcc, s6, v1
	s_nop 1
	v_cndmask_b32_e32 v1, v1, v2, vcc
	v_rsq_f32_e32 v1, v1
	s_nop 0
	v_mul_f32_e32 v2, 0x45800000, v1
	v_cndmask_b32_e32 v1, v1, v2, vcc
	v_mov_b32_e32 v2, 0
	ds_write_b32 v2, v1 offset:64
.LBB23_25:
	s_or_b64 exec, exec, s[4:5]
	s_lshr_b32 s4, s3, 31
	s_add_i32 s4, s3, s4
	s_ashr_i32 s14, s4, 1
	v_cmp_gt_i32_e32 vcc, s14, v0
	s_waitcnt lgkmcnt(0)
	s_barrier
	s_and_saveexec_b64 s[4:5], vcc
	s_cbranch_execz .LBB23_40
; %bb.26:
	s_load_dwordx4 s[4:7], s[0:1], 0x18
	s_load_dwordx2 s[10:11], s[0:1], 0x0
	s_mul_i32 s2, s2, s3
	v_mov_b32_e32 v3, 0
	ds_read_b32 v1, v3 offset:64
	s_waitcnt lgkmcnt(0)
	s_load_dword s3, s[6:7], 0x0
	s_lshl_b32 s15, s18, 1
	v_lshlrev_b32_e32 v2, 2, v0
	v_lshl_add_u32 v4, v0, 1, s2
	s_movk_i32 s16, 0x7fff
	s_waitcnt lgkmcnt(0)
	v_div_scale_f32 v5, s[0:1], s3, s3, 1.0
	v_rcp_f32_e32 v6, v5
	v_div_scale_f32 v7, vcc, 1.0, s3, 1.0
	s_mov_b32 s1, 0
	v_fma_f32 v8, -v5, v6, 1.0
	v_fmac_f32_e32 v6, v8, v6
	v_mul_f32_e32 v8, v7, v6
	v_fma_f32 v9, -v5, v8, v7
	v_fmac_f32_e32 v8, v9, v6
	v_fma_f32 v5, -v5, v8, v7
	v_div_fmas_f32 v5, v5, v6, v8
	v_div_fixup_f32 v5, v5, s3, 1.0
	s_lshl_b32 s0, s18, 2
	s_mov_b64 s[2:3], 0
	v_mov_b32_e32 v6, 0x7fc00000
	s_mov_b32 s17, 0x43f00000
	s_mov_b32 s19, 0x3c7fffff
	s_mov_b32 s20, 0x407ffff
	s_mov_b32 s21, 0x46800000
	s_movk_i32 s22, 0x80
	s_branch .LBB23_29
.LBB23_27:                              ;   in Loop: Header=BB23_29 Depth=1
	s_or_b64 exec, exec, s[12:13]
.LBB23_28:                              ;   in Loop: Header=BB23_29 Depth=1
	s_or_b64 exec, exec, s[6:7]
	v_add_u32_e32 v0, s18, v0
	v_lshrrev_b32_e32 v8, 24, v8
	v_cmp_le_i32_e32 vcc, s14, v0
	v_and_or_b32 v7, v8, s22, v7
	v_add_u32_e32 v8, 1, v4
	v_add_u32_e32 v4, s15, v4
	s_or_b64 s[2:3], vcc, s[2:3]
	v_lshl_add_u64 v[2:3], v[2:3], 0, s[0:1]
	global_store_byte v8, v7, s[10:11]
	s_andn2_b64 exec, exec, s[2:3]
	s_cbranch_execz .LBB23_40
.LBB23_29:                              ; =>This Inner Loop Header: Depth=1
	v_lshl_add_u64 v[8:9], s[8:9], 0, v[2:3]
	global_load_dword v8, v[8:9], off
	v_lshl_add_u64 v[10:11], s[4:5], 0, v[2:3]
	global_load_dword v9, v[10:11], off
	v_mov_b32_e32 v7, 0x7f
	s_waitcnt vmcnt(1)
	v_lshlrev_b32_e32 v10, 16, v8
	v_mul_f32_e32 v10, v1, v10
	v_bfe_u32 v12, v10, 16, 1
	v_add3_u32 v12, v10, v12, s16
	v_and_b32_e32 v12, 0xffff0000, v12
	v_cmp_o_f32_e32 vcc, v10, v10
	s_waitcnt vmcnt(0)
	v_lshlrev_b32_e32 v11, 16, v9
	v_cndmask_b32_e32 v10, v6, v12, vcc
	v_mul_f32_e32 v10, v10, v11
	v_bfe_u32 v11, v10, 16, 1
	v_add3_u32 v11, v10, v11, s16
	v_and_b32_e32 v11, 0xffff0000, v11
	v_cmp_o_f32_e32 vcc, v10, v10
	s_nop 1
	v_cndmask_b32_e32 v10, v6, v11, vcc
	v_mul_f32_e32 v10, v5, v10
	v_min_f32_e32 v10, 0x43e00000, v10
	v_max_f32_e32 v10, 0xc3e00000, v10
	v_and_b32_e32 v12, 0x7fffffff, v10
	v_cmp_gt_u32_e32 vcc, s17, v12
	v_mov_b32_e32 v11, 0x7f
	s_and_saveexec_b64 s[6:7], vcc
	s_cbranch_execz .LBB23_35
; %bb.30:                               ;   in Loop: Header=BB23_29 Depth=1
	v_cmp_lt_u32_e32 vcc, s19, v12
                                        ; implicit-def: $vgpr11
	s_and_saveexec_b64 s[12:13], vcc
	s_xor_b64 s[12:13], exec, s[12:13]
; %bb.31:                               ;   in Loop: Header=BB23_29 Depth=1
	v_bfe_u32 v11, v10, 20, 1
	v_add3_u32 v11, v10, v11, s20
	v_lshrrev_b32_e32 v11, 20, v11
; %bb.32:                               ;   in Loop: Header=BB23_29 Depth=1
	s_andn2_saveexec_b64 s[12:13], s[12:13]
; %bb.33:                               ;   in Loop: Header=BB23_29 Depth=1
	v_add_f32_e64 v11, |v10|, s21
; %bb.34:                               ;   in Loop: Header=BB23_29 Depth=1
	s_or_b64 exec, exec, s[12:13]
.LBB23_35:                              ;   in Loop: Header=BB23_29 Depth=1
	s_or_b64 exec, exec, s[6:7]
	v_and_b32_e32 v8, 0xffff0000, v8
	v_lshrrev_b32_e32 v10, 24, v10
	v_and_or_b32 v10, v10, s22, v11
	v_mul_f32_e32 v8, v1, v8
	global_store_byte v4, v10, s[10:11]
	v_bfe_u32 v10, v8, 16, 1
	v_add3_u32 v10, v8, v10, s16
	v_and_b32_e32 v10, 0xffff0000, v10
	v_cmp_o_f32_e32 vcc, v8, v8
	v_and_b32_e32 v9, 0xffff0000, v9
	s_nop 0
	v_cndmask_b32_e32 v8, v6, v10, vcc
	v_mul_f32_e32 v8, v8, v9
	v_bfe_u32 v9, v8, 16, 1
	v_add3_u32 v9, v8, v9, s16
	v_and_b32_e32 v9, 0xffff0000, v9
	v_cmp_o_f32_e32 vcc, v8, v8
	s_nop 1
	v_cndmask_b32_e32 v8, v6, v9, vcc
	v_mul_f32_e32 v8, v5, v8
	v_min_f32_e32 v8, 0x43e00000, v8
	v_max_f32_e32 v8, 0xc3e00000, v8
	v_and_b32_e32 v9, 0x7fffffff, v8
	v_cmp_gt_u32_e32 vcc, s17, v9
	s_and_saveexec_b64 s[6:7], vcc
	s_cbranch_execz .LBB23_28
; %bb.36:                               ;   in Loop: Header=BB23_29 Depth=1
	v_cmp_lt_u32_e32 vcc, s19, v9
                                        ; implicit-def: $vgpr7
	s_and_saveexec_b64 s[12:13], vcc
	s_xor_b64 s[12:13], exec, s[12:13]
; %bb.37:                               ;   in Loop: Header=BB23_29 Depth=1
	v_bfe_u32 v7, v8, 20, 1
	v_add3_u32 v7, v8, v7, s20
	v_lshrrev_b32_e32 v7, 20, v7
; %bb.38:                               ;   in Loop: Header=BB23_29 Depth=1
	s_andn2_saveexec_b64 s[12:13], s[12:13]
	s_cbranch_execz .LBB23_27
; %bb.39:                               ;   in Loop: Header=BB23_29 Depth=1
	v_add_f32_e64 v7, |v8|, s21
	s_branch .LBB23_27
.LBB23_40:
	s_endpgm
	.section	.rodata,"a",@progbits
	.p2align	6, 0x0
	.amdhsa_kernel _ZN4vllm32rms_norm_static_fp8_quant_kernelIN3c108BFloat16ENS1_13Float8_e4m3fnELi2EEEvPT0_PKT_iS8_PKffii
		.amdhsa_group_segment_fixed_size 68
		.amdhsa_private_segment_fixed_size 0
		.amdhsa_kernarg_size 312
		.amdhsa_user_sgpr_count 2
		.amdhsa_user_sgpr_dispatch_ptr 0
		.amdhsa_user_sgpr_queue_ptr 0
		.amdhsa_user_sgpr_kernarg_segment_ptr 1
		.amdhsa_user_sgpr_dispatch_id 0
		.amdhsa_user_sgpr_kernarg_preload_length 0
		.amdhsa_user_sgpr_kernarg_preload_offset 0
		.amdhsa_user_sgpr_private_segment_size 0
		.amdhsa_uses_dynamic_stack 0
		.amdhsa_enable_private_segment 0
		.amdhsa_system_sgpr_workgroup_id_x 1
		.amdhsa_system_sgpr_workgroup_id_y 0
		.amdhsa_system_sgpr_workgroup_id_z 0
		.amdhsa_system_sgpr_workgroup_info 0
		.amdhsa_system_vgpr_workitem_id 0
		.amdhsa_next_free_vgpr 13
		.amdhsa_next_free_sgpr 23
		.amdhsa_accum_offset 16
		.amdhsa_reserve_vcc 1
		.amdhsa_float_round_mode_32 0
		.amdhsa_float_round_mode_16_64 0
		.amdhsa_float_denorm_mode_32 3
		.amdhsa_float_denorm_mode_16_64 3
		.amdhsa_dx10_clamp 1
		.amdhsa_ieee_mode 1
		.amdhsa_fp16_overflow 0
		.amdhsa_tg_split 0
		.amdhsa_exception_fp_ieee_invalid_op 0
		.amdhsa_exception_fp_denorm_src 0
		.amdhsa_exception_fp_ieee_div_zero 0
		.amdhsa_exception_fp_ieee_overflow 0
		.amdhsa_exception_fp_ieee_underflow 0
		.amdhsa_exception_fp_ieee_inexact 0
		.amdhsa_exception_int_div_zero 0
	.end_amdhsa_kernel
	.section	.text._ZN4vllm32rms_norm_static_fp8_quant_kernelIN3c108BFloat16ENS1_13Float8_e4m3fnELi2EEEvPT0_PKT_iS8_PKffii,"axG",@progbits,_ZN4vllm32rms_norm_static_fp8_quant_kernelIN3c108BFloat16ENS1_13Float8_e4m3fnELi2EEEvPT0_PKT_iS8_PKffii,comdat
.Lfunc_end23:
	.size	_ZN4vllm32rms_norm_static_fp8_quant_kernelIN3c108BFloat16ENS1_13Float8_e4m3fnELi2EEEvPT0_PKT_iS8_PKffii, .Lfunc_end23-_ZN4vllm32rms_norm_static_fp8_quant_kernelIN3c108BFloat16ENS1_13Float8_e4m3fnELi2EEEvPT0_PKT_iS8_PKffii
                                        ; -- End function
	.section	.AMDGPU.csdata,"",@progbits
; Kernel info:
; codeLenInByte = 2216
; NumSgprs: 29
; NumVgprs: 13
; NumAgprs: 0
; TotalNumVgprs: 13
; ScratchSize: 0
; MemoryBound: 0
; FloatMode: 240
; IeeeMode: 1
; LDSByteSize: 68 bytes/workgroup (compile time only)
; SGPRBlocks: 3
; VGPRBlocks: 1
; NumSGPRsForWavesPerEU: 29
; NumVGPRsForWavesPerEU: 13
; AccumOffset: 16
; Occupancy: 8
; WaveLimiterHint : 0
; COMPUTE_PGM_RSRC2:SCRATCH_EN: 0
; COMPUTE_PGM_RSRC2:USER_SGPR: 2
; COMPUTE_PGM_RSRC2:TRAP_HANDLER: 0
; COMPUTE_PGM_RSRC2:TGID_X_EN: 1
; COMPUTE_PGM_RSRC2:TGID_Y_EN: 0
; COMPUTE_PGM_RSRC2:TGID_Z_EN: 0
; COMPUTE_PGM_RSRC2:TIDIG_COMP_CNT: 0
; COMPUTE_PGM_RSRC3_GFX90A:ACCUM_OFFSET: 3
; COMPUTE_PGM_RSRC3_GFX90A:TG_SPLIT: 0
	.section	.text._ZN4vllm32rms_norm_static_fp8_quant_kernelIN3c108BFloat16ENS1_13Float8_e4m3fnELi1EEEvPT0_PKT_iS8_PKffii,"axG",@progbits,_ZN4vllm32rms_norm_static_fp8_quant_kernelIN3c108BFloat16ENS1_13Float8_e4m3fnELi1EEEvPT0_PKT_iS8_PKffii,comdat
	.protected	_ZN4vllm32rms_norm_static_fp8_quant_kernelIN3c108BFloat16ENS1_13Float8_e4m3fnELi1EEEvPT0_PKT_iS8_PKffii ; -- Begin function _ZN4vllm32rms_norm_static_fp8_quant_kernelIN3c108BFloat16ENS1_13Float8_e4m3fnELi1EEEvPT0_PKT_iS8_PKffii
	.globl	_ZN4vllm32rms_norm_static_fp8_quant_kernelIN3c108BFloat16ENS1_13Float8_e4m3fnELi1EEEvPT0_PKT_iS8_PKffii
	.p2align	8
	.type	_ZN4vllm32rms_norm_static_fp8_quant_kernelIN3c108BFloat16ENS1_13Float8_e4m3fnELi1EEEvPT0_PKT_iS8_PKffii,@function
_ZN4vllm32rms_norm_static_fp8_quant_kernelIN3c108BFloat16ENS1_13Float8_e4m3fnELi1EEEvPT0_PKT_iS8_PKffii: ; @_ZN4vllm32rms_norm_static_fp8_quant_kernelIN3c108BFloat16ENS1_13Float8_e4m3fnELi1EEEvPT0_PKT_iS8_PKffii
; %bb.0:
	s_load_dword s3, s[0:1], 0x10
	s_load_dwordx2 s[6:7], s[0:1], 0x8
	s_load_dword s16, s[0:1], 0x30
	s_load_dword s12, s[0:1], 0x44
	s_mov_b32 s5, 0
	s_waitcnt lgkmcnt(0)
	s_mul_i32 s4, s2, s3
	s_lshl_b64 s[10:11], s[4:5], 1
	s_add_u32 s8, s6, s10
	s_addc_u32 s9, s7, s11
	s_and_b32 s17, s12, 0xffff
	s_bitcmp1_b32 s8, 0
	s_cselect_b64 s[4:5], -1, 0
	s_and_b64 vcc, exec, s[4:5]
	s_cbranch_vccz .LBB24_6
; %bb.1:
	s_min_i32 s12, s16, 0
	s_sub_i32 s3, s16, s12
	v_cmp_gt_i32_e32 vcc, s3, v0
	v_mov_b32_e32 v3, 0
	s_and_saveexec_b64 s[4:5], vcc
	s_cbranch_execz .LBB24_5
; %bb.2:
	s_ashr_i32 s13, s12, 31
	s_lshl_b64 s[14:15], s[12:13], 1
	s_add_u32 s12, s6, s10
	s_addc_u32 s18, s7, s11
	s_add_u32 s14, s12, s14
	v_lshlrev_b32_e32 v2, 1, v0
	v_mov_b32_e32 v3, 0
	s_addc_u32 s15, s18, s15
	s_mov_b32 s13, 0
	v_lshl_add_u64 v[4:5], s[14:15], 0, v[2:3]
	s_lshl_b32 s12, s17, 1
	s_mov_b64 s[14:15], 0
	v_mov_b32_e32 v1, v0
.LBB24_3:                               ; =>This Inner Loop Header: Depth=1
	global_load_ushort v2, v[4:5], off
	v_add_u32_e32 v1, s17, v1
	v_cmp_le_i32_e32 vcc, s3, v1
	v_lshl_add_u64 v[4:5], v[4:5], 0, s[12:13]
	s_or_b64 s[14:15], vcc, s[14:15]
	s_waitcnt vmcnt(0)
	v_lshlrev_b32_e32 v2, 16, v2
	v_fmac_f32_e32 v3, v2, v2
	s_andn2_b64 exec, exec, s[14:15]
	s_cbranch_execnz .LBB24_3
; %bb.4:
	s_or_b64 exec, exec, s[14:15]
.LBB24_5:
	s_or_b64 exec, exec, s[4:5]
	v_cmp_gt_i32_e64 s[4:5], s16, v0
	s_cbranch_execz .LBB24_7
	s_branch .LBB24_12
.LBB24_6:
                                        ; implicit-def: $vgpr3
	v_cmp_gt_i32_e64 s[4:5], s16, v0
.LBB24_7:
	v_mov_b32_e32 v3, 0
	s_and_saveexec_b64 s[12:13], s[4:5]
	s_cbranch_execz .LBB24_11
; %bb.8:
	s_add_u32 s6, s6, s10
	v_lshlrev_b32_e32 v2, 1, v0
	v_mov_b32_e32 v3, 0
	s_addc_u32 s7, s7, s11
	s_mov_b32 s5, 0
	v_lshl_add_u64 v[4:5], s[6:7], 0, v[2:3]
	s_lshl_b32 s4, s17, 1
	s_mov_b64 s[6:7], 0
	v_mov_b32_e32 v1, v0
.LBB24_9:                               ; =>This Inner Loop Header: Depth=1
	global_load_ushort v2, v[4:5], off
	v_add_u32_e32 v1, s17, v1
	v_cmp_le_i32_e32 vcc, s16, v1
	v_lshl_add_u64 v[4:5], v[4:5], 0, s[4:5]
	s_or_b64 s[6:7], vcc, s[6:7]
	s_waitcnt vmcnt(0)
	v_lshlrev_b32_e32 v2, 16, v2
	v_fmac_f32_e32 v3, v2, v2
	s_andn2_b64 exec, exec, s[6:7]
	s_cbranch_execnz .LBB24_9
; %bb.10:
	s_or_b64 exec, exec, s[6:7]
.LBB24_11:
	s_or_b64 exec, exec, s[12:13]
.LBB24_12:
	v_mbcnt_lo_u32_b32 v1, -1, 0
	v_mbcnt_hi_u32_b32 v1, -1, v1
	v_and_b32_e32 v2, 63, v1
	v_cmp_ne_u32_e32 vcc, 63, v2
	v_and_b32_e32 v5, 0x3c0, v0
	v_sub_u32_e64 v5, s17, v5 clamp
	v_addc_co_u32_e32 v4, vcc, 0, v1, vcc
	v_lshlrev_b32_e32 v4, 2, v4
	ds_bpermute_b32 v4, v4, v3
	v_add_u32_e32 v6, 1, v1
	v_cmp_lt_u32_e32 vcc, v6, v5
	v_add_u32_e32 v6, 2, v1
	s_waitcnt lgkmcnt(0)
	v_add_f32_e32 v4, v3, v4
	v_cndmask_b32_e32 v3, v3, v4, vcc
	v_cmp_gt_u32_e32 vcc, 62, v2
	s_nop 1
	v_cndmask_b32_e64 v4, 0, 1, vcc
	v_lshlrev_b32_e32 v4, 1, v4
	v_add_lshl_u32 v4, v4, v1, 2
	ds_bpermute_b32 v4, v4, v3
	v_cmp_lt_u32_e32 vcc, v6, v5
	v_add_u32_e32 v6, 4, v1
	s_waitcnt lgkmcnt(0)
	v_add_f32_e32 v4, v3, v4
	v_cndmask_b32_e32 v3, v3, v4, vcc
	v_cmp_gt_u32_e32 vcc, 60, v2
	s_nop 1
	v_cndmask_b32_e64 v4, 0, 1, vcc
	v_lshlrev_b32_e32 v4, 2, v4
	v_add_lshl_u32 v4, v4, v1, 2
	ds_bpermute_b32 v4, v4, v3
	;; [unrolled: 11-line block ×4, first 2 shown]
	v_cmp_lt_u32_e32 vcc, v6, v5
	s_waitcnt lgkmcnt(0)
	v_add_f32_e32 v4, v3, v4
	v_cndmask_b32_e32 v3, v3, v4, vcc
	v_cmp_gt_u32_e32 vcc, 32, v2
	v_add_u32_e32 v4, 32, v1
	s_nop 0
	v_cndmask_b32_e64 v2, 0, 1, vcc
	v_lshlrev_b32_e32 v2, 5, v2
	v_add_lshl_u32 v2, v2, v1, 2
	ds_bpermute_b32 v2, v2, v3
	v_cmp_lt_u32_e32 vcc, v4, v5
	s_waitcnt lgkmcnt(0)
	v_add_f32_e32 v2, v3, v2
	v_cndmask_b32_e32 v2, v3, v2, vcc
	v_cmp_eq_u32_e32 vcc, 0, v1
	s_and_saveexec_b64 s[4:5], vcc
	s_cbranch_execz .LBB24_14
; %bb.13:
	v_lshrrev_b32_e32 v3, 4, v0
	v_and_b32_e32 v3, 60, v3
	ds_write_b32 v3, v2
.LBB24_14:
	s_or_b64 exec, exec, s[4:5]
	v_cmp_gt_u32_e32 vcc, 16, v0
	s_waitcnt lgkmcnt(0)
	s_barrier
	s_and_saveexec_b64 s[6:7], vcc
	s_cbranch_execz .LBB24_16
; %bb.15:
	v_lshlrev_b32_e32 v2, 2, v1
	ds_read_b32 v2, v2
	v_and_b32_e32 v3, 15, v1
	v_cmp_ne_u32_e32 vcc, 15, v3
	s_add_i32 s3, s17, 63
	s_lshr_b32 s3, s3, 6
	v_addc_co_u32_e32 v4, vcc, 0, v1, vcc
	v_lshlrev_b32_e32 v4, 2, v4
	s_waitcnt lgkmcnt(0)
	ds_bpermute_b32 v4, v4, v2
	v_add_u32_e32 v5, 1, v3
	v_cmp_gt_u32_e64 s[4:5], 14, v3
	v_cmp_gt_u32_e32 vcc, s3, v5
	v_add_u32_e32 v6, 2, v3
	v_cndmask_b32_e64 v5, 0, 1, s[4:5]
	s_waitcnt lgkmcnt(0)
	v_add_f32_e32 v4, v2, v4
	v_lshlrev_b32_e32 v5, 1, v5
	v_cndmask_b32_e32 v4, v2, v4, vcc
	v_add_lshl_u32 v5, v5, v1, 2
	ds_bpermute_b32 v5, v5, v4
	v_cmp_gt_u32_e64 s[4:5], s3, v6
	v_add_u32_e32 v6, 4, v3
	s_waitcnt lgkmcnt(0)
	v_add_f32_e32 v5, v4, v5
	v_cndmask_b32_e64 v4, v4, v5, s[4:5]
	v_cmp_gt_u32_e64 s[4:5], 12, v3
	s_nop 1
	v_cndmask_b32_e64 v5, 0, 1, s[4:5]
	v_lshlrev_b32_e32 v5, 2, v5
	v_add_lshl_u32 v5, v5, v1, 2
	ds_bpermute_b32 v5, v5, v4
	v_cmp_gt_u32_e64 s[4:5], s3, v6
	s_waitcnt lgkmcnt(0)
	v_add_f32_e32 v5, v4, v5
	v_cndmask_b32_e64 v4, v4, v5, s[4:5]
	v_cmp_gt_u32_e64 s[4:5], 8, v3
	v_add_u32_e32 v3, 8, v3
	s_nop 0
	v_cndmask_b32_e64 v5, 0, 1, s[4:5]
	v_lshlrev_b32_e32 v5, 3, v5
	v_add_lshl_u32 v1, v5, v1, 2
	ds_bpermute_b32 v1, v1, v4
	v_cmp_gt_u32_e64 s[4:5], s3, v3
	s_waitcnt lgkmcnt(0)
	v_add_f32_e32 v1, v4, v1
	v_cndmask_b32_e64 v1, v4, v1, s[4:5]
	v_cndmask_b32_e32 v2, v2, v1, vcc
.LBB24_16:
	s_or_b64 exec, exec, s[6:7]
	v_cmp_eq_u32_e32 vcc, 0, v0
	s_and_saveexec_b64 s[4:5], vcc
	s_cbranch_execz .LBB24_18
; %bb.17:
	v_cvt_f32_i32_e32 v1, s16
	s_load_dword s3, s[0:1], 0x28
	v_div_scale_f32 v3, s[6:7], v1, v1, v2
	v_rcp_f32_e32 v4, v3
	v_div_scale_f32 v5, vcc, v2, v1, v2
	s_mov_b32 s6, 0x800000
	v_fma_f32 v6, -v3, v4, 1.0
	v_fmac_f32_e32 v4, v6, v4
	v_mul_f32_e32 v6, v5, v4
	v_fma_f32 v7, -v3, v6, v5
	v_fmac_f32_e32 v6, v7, v4
	v_fma_f32 v3, -v3, v6, v5
	v_div_fmas_f32 v3, v3, v4, v6
	v_div_fixup_f32 v1, v3, v1, v2
	s_waitcnt lgkmcnt(0)
	v_add_f32_e32 v1, s3, v1
	v_mul_f32_e32 v2, 0x4b800000, v1
	v_cmp_gt_f32_e32 vcc, s6, v1
	s_nop 1
	v_cndmask_b32_e32 v1, v1, v2, vcc
	v_rsq_f32_e32 v1, v1
	s_nop 0
	v_mul_f32_e32 v2, 0x45800000, v1
	v_cndmask_b32_e32 v1, v1, v2, vcc
	v_mov_b32_e32 v2, 0
	ds_write_b32 v2, v1 offset:64
.LBB24_18:
	s_or_b64 exec, exec, s[4:5]
	v_cmp_gt_i32_e32 vcc, s16, v0
	s_waitcnt lgkmcnt(0)
	s_barrier
	s_and_saveexec_b64 s[4:5], vcc
	s_cbranch_execz .LBB24_27
; %bb.19:
	s_load_dwordx4 s[4:7], s[0:1], 0x18
	s_load_dwordx2 s[10:11], s[0:1], 0x0
	s_mul_i32 s12, s2, s16
	v_mov_b32_e32 v1, 0
	ds_read_b32 v3, v1 offset:64
	s_waitcnt lgkmcnt(0)
	s_load_dword s6, s[6:7], 0x0
	s_mov_b64 s[0:1], 0
	s_movk_i32 s13, 0x7fff
	v_mov_b32_e32 v2, 0x7fc00000
	s_mov_b32 s14, 0x43f00000
	s_waitcnt lgkmcnt(0)
	v_div_scale_f32 v4, s[2:3], s6, s6, 1.0
	v_rcp_f32_e32 v5, v4
	v_div_scale_f32 v1, vcc, 1.0, s6, 1.0
	s_mov_b32 s15, 0x3c7fffff
	v_fma_f32 v6, -v4, v5, 1.0
	v_fmac_f32_e32 v5, v6, v5
	v_mul_f32_e32 v6, v1, v5
	v_fma_f32 v7, -v4, v6, v1
	v_fmac_f32_e32 v6, v7, v5
	v_fma_f32 v1, -v4, v6, v1
	v_div_fmas_f32 v1, v1, v5, v6
	v_div_fixup_f32 v4, v1, s6, 1.0
	s_mov_b32 s18, 0x407ffff
	s_mov_b32 s19, 0x46800000
	s_movk_i32 s20, 0x80
	s_branch .LBB24_22
.LBB24_20:                              ;   in Loop: Header=BB24_22 Depth=1
	s_or_b64 exec, exec, s[6:7]
.LBB24_21:                              ;   in Loop: Header=BB24_22 Depth=1
	s_or_b64 exec, exec, s[2:3]
	v_lshrrev_b32_e32 v1, 24, v1
	v_and_or_b32 v1, v1, s20, v5
	v_add_u32_e32 v5, s12, v0
	v_add_u32_e32 v0, s17, v0
	v_cmp_le_i32_e32 vcc, s16, v0
	s_or_b64 s[0:1], vcc, s[0:1]
	global_store_byte v5, v1, s[10:11]
	s_andn2_b64 exec, exec, s[0:1]
	s_cbranch_execz .LBB24_27
.LBB24_22:                              ; =>This Inner Loop Header: Depth=1
	v_ashrrev_i32_e32 v1, 31, v0
	v_lshlrev_b64 v[6:7], 1, v[0:1]
	v_lshl_add_u64 v[8:9], s[8:9], 0, v[6:7]
	v_lshl_add_u64 v[6:7], s[4:5], 0, v[6:7]
	global_load_ushort v1, v[8:9], off
	global_load_ushort v5, v[6:7], off
	s_waitcnt vmcnt(1)
	v_lshlrev_b32_e32 v1, 16, v1
	v_mul_f32_e32 v1, v3, v1
	v_bfe_u32 v6, v1, 16, 1
	v_add3_u32 v6, v1, v6, s13
	v_and_b32_e32 v6, 0xffff0000, v6
	v_cmp_o_f32_e32 vcc, v1, v1
	s_waitcnt vmcnt(0)
	v_lshlrev_b32_e32 v5, 16, v5
	v_cndmask_b32_e32 v1, v2, v6, vcc
	v_mul_f32_e32 v1, v1, v5
	v_bfe_u32 v5, v1, 16, 1
	v_add3_u32 v5, v1, v5, s13
	v_and_b32_e32 v5, 0xffff0000, v5
	v_cmp_o_f32_e32 vcc, v1, v1
	s_nop 1
	v_cndmask_b32_e32 v1, v2, v5, vcc
	v_mul_f32_e32 v1, v4, v1
	v_min_f32_e32 v1, 0x43e00000, v1
	v_max_f32_e32 v1, 0xc3e00000, v1
	v_and_b32_e32 v6, 0x7fffffff, v1
	v_cmp_gt_u32_e32 vcc, s14, v6
	v_mov_b32_e32 v5, 0x7f
	s_and_saveexec_b64 s[2:3], vcc
	s_cbranch_execz .LBB24_21
; %bb.23:                               ;   in Loop: Header=BB24_22 Depth=1
	v_cmp_lt_u32_e32 vcc, s15, v6
                                        ; implicit-def: $vgpr5
	s_and_saveexec_b64 s[6:7], vcc
	s_xor_b64 s[6:7], exec, s[6:7]
; %bb.24:                               ;   in Loop: Header=BB24_22 Depth=1
	v_bfe_u32 v5, v1, 20, 1
	v_add3_u32 v5, v1, v5, s18
	v_lshrrev_b32_e32 v5, 20, v5
; %bb.25:                               ;   in Loop: Header=BB24_22 Depth=1
	s_andn2_saveexec_b64 s[6:7], s[6:7]
	s_cbranch_execz .LBB24_20
; %bb.26:                               ;   in Loop: Header=BB24_22 Depth=1
	v_add_f32_e64 v5, |v1|, s19
	s_branch .LBB24_20
.LBB24_27:
	s_endpgm
	.section	.rodata,"a",@progbits
	.p2align	6, 0x0
	.amdhsa_kernel _ZN4vllm32rms_norm_static_fp8_quant_kernelIN3c108BFloat16ENS1_13Float8_e4m3fnELi1EEEvPT0_PKT_iS8_PKffii
		.amdhsa_group_segment_fixed_size 68
		.amdhsa_private_segment_fixed_size 0
		.amdhsa_kernarg_size 312
		.amdhsa_user_sgpr_count 2
		.amdhsa_user_sgpr_dispatch_ptr 0
		.amdhsa_user_sgpr_queue_ptr 0
		.amdhsa_user_sgpr_kernarg_segment_ptr 1
		.amdhsa_user_sgpr_dispatch_id 0
		.amdhsa_user_sgpr_kernarg_preload_length 0
		.amdhsa_user_sgpr_kernarg_preload_offset 0
		.amdhsa_user_sgpr_private_segment_size 0
		.amdhsa_uses_dynamic_stack 0
		.amdhsa_enable_private_segment 0
		.amdhsa_system_sgpr_workgroup_id_x 1
		.amdhsa_system_sgpr_workgroup_id_y 0
		.amdhsa_system_sgpr_workgroup_id_z 0
		.amdhsa_system_sgpr_workgroup_info 0
		.amdhsa_system_vgpr_workitem_id 0
		.amdhsa_next_free_vgpr 10
		.amdhsa_next_free_sgpr 21
		.amdhsa_accum_offset 12
		.amdhsa_reserve_vcc 1
		.amdhsa_float_round_mode_32 0
		.amdhsa_float_round_mode_16_64 0
		.amdhsa_float_denorm_mode_32 3
		.amdhsa_float_denorm_mode_16_64 3
		.amdhsa_dx10_clamp 1
		.amdhsa_ieee_mode 1
		.amdhsa_fp16_overflow 0
		.amdhsa_tg_split 0
		.amdhsa_exception_fp_ieee_invalid_op 0
		.amdhsa_exception_fp_denorm_src 0
		.amdhsa_exception_fp_ieee_div_zero 0
		.amdhsa_exception_fp_ieee_overflow 0
		.amdhsa_exception_fp_ieee_underflow 0
		.amdhsa_exception_fp_ieee_inexact 0
		.amdhsa_exception_int_div_zero 0
	.end_amdhsa_kernel
	.section	.text._ZN4vllm32rms_norm_static_fp8_quant_kernelIN3c108BFloat16ENS1_13Float8_e4m3fnELi1EEEvPT0_PKT_iS8_PKffii,"axG",@progbits,_ZN4vllm32rms_norm_static_fp8_quant_kernelIN3c108BFloat16ENS1_13Float8_e4m3fnELi1EEEvPT0_PKT_iS8_PKffii,comdat
.Lfunc_end24:
	.size	_ZN4vllm32rms_norm_static_fp8_quant_kernelIN3c108BFloat16ENS1_13Float8_e4m3fnELi1EEEvPT0_PKT_iS8_PKffii, .Lfunc_end24-_ZN4vllm32rms_norm_static_fp8_quant_kernelIN3c108BFloat16ENS1_13Float8_e4m3fnELi1EEEvPT0_PKT_iS8_PKffii
                                        ; -- End function
	.section	.AMDGPU.csdata,"",@progbits
; Kernel info:
; codeLenInByte = 1688
; NumSgprs: 27
; NumVgprs: 10
; NumAgprs: 0
; TotalNumVgprs: 10
; ScratchSize: 0
; MemoryBound: 0
; FloatMode: 240
; IeeeMode: 1
; LDSByteSize: 68 bytes/workgroup (compile time only)
; SGPRBlocks: 3
; VGPRBlocks: 1
; NumSGPRsForWavesPerEU: 27
; NumVGPRsForWavesPerEU: 10
; AccumOffset: 12
; Occupancy: 8
; WaveLimiterHint : 0
; COMPUTE_PGM_RSRC2:SCRATCH_EN: 0
; COMPUTE_PGM_RSRC2:USER_SGPR: 2
; COMPUTE_PGM_RSRC2:TRAP_HANDLER: 0
; COMPUTE_PGM_RSRC2:TGID_X_EN: 1
; COMPUTE_PGM_RSRC2:TGID_Y_EN: 0
; COMPUTE_PGM_RSRC2:TGID_Z_EN: 0
; COMPUTE_PGM_RSRC2:TIDIG_COMP_CNT: 0
; COMPUTE_PGM_RSRC3_GFX90A:ACCUM_OFFSET: 2
; COMPUTE_PGM_RSRC3_GFX90A:TG_SPLIT: 0
	.section	.text._ZN4vllm32rms_norm_static_fp8_quant_kernelIN3c108BFloat16ENS1_15Float8_e4m3fnuzELi16EEEvPT0_PKT_iS8_PKffii,"axG",@progbits,_ZN4vllm32rms_norm_static_fp8_quant_kernelIN3c108BFloat16ENS1_15Float8_e4m3fnuzELi16EEEvPT0_PKT_iS8_PKffii,comdat
	.protected	_ZN4vllm32rms_norm_static_fp8_quant_kernelIN3c108BFloat16ENS1_15Float8_e4m3fnuzELi16EEEvPT0_PKT_iS8_PKffii ; -- Begin function _ZN4vllm32rms_norm_static_fp8_quant_kernelIN3c108BFloat16ENS1_15Float8_e4m3fnuzELi16EEEvPT0_PKT_iS8_PKffii
	.globl	_ZN4vllm32rms_norm_static_fp8_quant_kernelIN3c108BFloat16ENS1_15Float8_e4m3fnuzELi16EEEvPT0_PKT_iS8_PKffii
	.p2align	8
	.type	_ZN4vllm32rms_norm_static_fp8_quant_kernelIN3c108BFloat16ENS1_15Float8_e4m3fnuzELi16EEEvPT0_PKT_iS8_PKffii,@function
_ZN4vllm32rms_norm_static_fp8_quant_kernelIN3c108BFloat16ENS1_15Float8_e4m3fnuzELi16EEEvPT0_PKT_iS8_PKffii: ; @_ZN4vllm32rms_norm_static_fp8_quant_kernelIN3c108BFloat16ENS1_15Float8_e4m3fnuzELi16EEEvPT0_PKT_iS8_PKffii
; %bb.0:
	s_load_dword s6, s[0:1], 0x10
	s_load_dwordx2 s[4:5], s[0:1], 0x8
	s_load_dword s3, s[0:1], 0x30
	s_load_dword s10, s[0:1], 0x44
	s_mov_b32 s9, 0
	s_waitcnt lgkmcnt(0)
	s_mul_i32 s8, s2, s6
	s_lshl_b64 s[6:7], s[8:9], 1
	s_add_u32 s30, s4, s6
	s_addc_u32 s31, s5, s7
	s_and_b32 s33, s10, 0xffff
	s_and_b32 s8, s30, 31
	s_cmp_lg_u64 s[8:9], 0
	s_cselect_b64 s[8:9], -1, 0
	s_and_b32 s10, s3, 15
	s_cmp_lg_u32 s10, 0
	s_cselect_b64 s[10:11], -1, 0
	s_or_b64 s[8:9], s[8:9], s[10:11]
	s_and_b64 vcc, exec, s[8:9]
	s_cbranch_vccz .LBB25_14
; %bb.1:
	s_sub_i32 s8, 0, s30
	s_bfe_u32 s8, s8, 0x40001
	s_min_i32 s8, s8, s3
	v_cmp_gt_i32_e32 vcc, s8, v0
	v_mov_b32_e32 v3, 0
	s_and_saveexec_b64 s[10:11], vcc
	s_cbranch_execz .LBB25_5
; %bb.2:
	s_add_u32 s14, s4, s6
	v_lshlrev_b32_e32 v2, 1, v0
	v_mov_b32_e32 v3, 0
	s_addc_u32 s15, s5, s7
	s_mov_b32 s13, 0
	v_lshl_add_u64 v[4:5], s[14:15], 0, v[2:3]
	s_lshl_b32 s12, s33, 1
	s_mov_b64 s[14:15], 0
	v_mov_b32_e32 v1, v0
.LBB25_3:                               ; =>This Inner Loop Header: Depth=1
	global_load_ushort v2, v[4:5], off
	v_add_u32_e32 v1, s33, v1
	v_cmp_le_i32_e32 vcc, s8, v1
	v_lshl_add_u64 v[4:5], v[4:5], 0, s[12:13]
	s_or_b64 s[14:15], vcc, s[14:15]
	s_waitcnt vmcnt(0)
	v_lshlrev_b32_e32 v2, 16, v2
	v_fmac_f32_e32 v3, v2, v2
	s_andn2_b64 exec, exec, s[14:15]
	s_cbranch_execnz .LBB25_3
; %bb.4:
	s_or_b64 exec, exec, s[14:15]
.LBB25_5:
	s_or_b64 exec, exec, s[10:11]
	s_sub_i32 s16, s3, s8
	s_ashr_i32 s10, s16, 31
	s_lshr_b32 s10, s10, 28
	s_add_i32 s10, s16, s10
	s_ashr_i32 s17, s10, 4
	s_ashr_i32 s9, s8, 31
	v_cmp_gt_i32_e32 vcc, s17, v0
	s_and_saveexec_b64 s[10:11], vcc
	s_cbranch_execz .LBB25_9
; %bb.6:
	s_lshl_b64 s[14:15], s[8:9], 1
	s_add_u32 s12, s4, s6
	s_addc_u32 s18, s5, s7
	s_add_u32 s14, s12, s14
	v_lshlrev_b32_e32 v4, 5, v0
	v_mov_b32_e32 v5, 0
	s_addc_u32 s15, s18, s15
	s_mov_b32 s13, 0
	v_lshl_add_u64 v[4:5], s[14:15], 0, v[4:5]
	s_lshl_b32 s12, s33, 5
	s_mov_b64 s[14:15], 0
	v_mov_b32_e32 v1, v0
.LBB25_7:                               ; =>This Inner Loop Header: Depth=1
	global_load_dwordx4 v[6:9], v[4:5], off
	global_load_dwordx4 v[10:13], v[4:5], off offset:16
	v_add_u32_e32 v1, s33, v1
	v_cmp_le_i32_e32 vcc, s17, v1
	v_lshl_add_u64 v[4:5], v[4:5], 0, s[12:13]
	s_or_b64 s[14:15], vcc, s[14:15]
	s_waitcnt vmcnt(1)
	v_lshlrev_b32_e32 v2, 16, v6
	v_and_b32_e32 v20, 0xffff0000, v6
	v_fmac_f32_e32 v3, v2, v2
	v_lshlrev_b32_e32 v21, 16, v7
	v_fmac_f32_e32 v3, v20, v20
	v_and_b32_e32 v22, 0xffff0000, v7
	v_and_b32_e32 v7, 0xffff0000, v8
	v_lshlrev_b32_e32 v6, 16, v8
	v_fmac_f32_e32 v3, v21, v21
	v_pk_mul_f32 v[6:7], v[6:7], v[6:7]
	v_fmac_f32_e32 v3, v22, v22
	v_and_b32_e32 v15, 0xffff0000, v9
	v_lshlrev_b32_e32 v14, 16, v9
	v_add_f32_e32 v2, v3, v6
	s_waitcnt vmcnt(0)
	v_and_b32_e32 v9, 0xffff0000, v10
	v_lshlrev_b32_e32 v8, 16, v10
	v_and_b32_e32 v17, 0xffff0000, v11
	v_lshlrev_b32_e32 v16, 16, v11
	;; [unrolled: 2-line block ×4, first 2 shown]
	v_pk_mul_f32 v[12:13], v[14:15], v[14:15]
	v_add_f32_e32 v2, v2, v7
	v_add_f32_e32 v2, v2, v12
	v_pk_mul_f32 v[8:9], v[8:9], v[8:9]
	v_add_f32_e32 v2, v2, v13
	v_add_f32_e32 v2, v2, v8
	;; [unrolled: 3-line block ×5, first 2 shown]
	v_add_f32_e32 v3, v2, v17
	s_andn2_b64 exec, exec, s[14:15]
	s_cbranch_execnz .LBB25_7
; %bb.8:
	s_or_b64 exec, exec, s[14:15]
.LBB25_9:
	s_or_b64 exec, exec, s[10:11]
	v_lshl_add_u32 v4, s17, 4, v0
	v_cmp_gt_i32_e32 vcc, s16, v4
	s_and_saveexec_b64 s[10:11], vcc
	s_cbranch_execz .LBB25_13
; %bb.10:
	s_lshl_b64 s[8:9], s[8:9], 1
	s_add_u32 s12, s4, s6
	s_addc_u32 s13, s5, s7
	s_add_u32 s8, s12, s8
	v_ashrrev_i32_e32 v5, 31, v4
	s_addc_u32 s9, s13, s9
	v_lshl_add_u64 v[6:7], v[4:5], 1, s[8:9]
	s_lshl_b32 s8, s33, 1
	s_mov_b32 s9, 0
	s_mov_b64 s[12:13], 0
.LBB25_11:                              ; =>This Inner Loop Header: Depth=1
	global_load_ushort v1, v[6:7], off
	v_add_u32_e32 v4, s33, v4
	v_cmp_le_i32_e32 vcc, s16, v4
	v_lshl_add_u64 v[6:7], v[6:7], 0, s[8:9]
	s_or_b64 s[12:13], vcc, s[12:13]
	s_waitcnt vmcnt(0)
	v_lshlrev_b32_e32 v1, 16, v1
	v_fmac_f32_e32 v3, v1, v1
	s_andn2_b64 exec, exec, s[12:13]
	s_cbranch_execnz .LBB25_11
; %bb.12:
	s_or_b64 exec, exec, s[12:13]
.LBB25_13:
	s_or_b64 exec, exec, s[10:11]
	s_branch .LBB25_20
.LBB25_14:
                                        ; implicit-def: $vgpr3
	s_cbranch_execz .LBB25_20
; %bb.15:
	s_ashr_i32 s12, s3, 4
	v_cmp_gt_i32_e32 vcc, s12, v0
	v_mov_b32_e32 v3, 0
	s_and_saveexec_b64 s[8:9], vcc
	s_cbranch_execz .LBB25_19
; %bb.16:
	s_add_u32 s4, s4, s6
	v_lshlrev_b32_e32 v2, 5, v0
	v_mov_b32_e32 v3, 0
	s_addc_u32 s5, s5, s7
	s_mov_b32 s11, 0
	v_lshl_add_u64 v[4:5], s[4:5], 0, v[2:3]
	s_lshl_b32 s10, s33, 5
	s_mov_b64 s[4:5], 0
	v_mov_b32_e32 v1, v0
.LBB25_17:                              ; =>This Inner Loop Header: Depth=1
	global_load_dwordx4 v[6:9], v[4:5], off
	global_load_dwordx4 v[10:13], v[4:5], off offset:16
	v_add_u32_e32 v1, s33, v1
	v_cmp_le_i32_e32 vcc, s12, v1
	v_lshl_add_u64 v[4:5], v[4:5], 0, s[10:11]
	s_or_b64 s[4:5], vcc, s[4:5]
	s_waitcnt vmcnt(1)
	v_lshlrev_b32_e32 v2, 16, v6
	v_and_b32_e32 v20, 0xffff0000, v6
	v_fmac_f32_e32 v3, v2, v2
	v_lshlrev_b32_e32 v21, 16, v7
	v_fmac_f32_e32 v3, v20, v20
	v_and_b32_e32 v22, 0xffff0000, v7
	v_and_b32_e32 v7, 0xffff0000, v8
	v_lshlrev_b32_e32 v6, 16, v8
	v_fmac_f32_e32 v3, v21, v21
	v_pk_mul_f32 v[6:7], v[6:7], v[6:7]
	v_fmac_f32_e32 v3, v22, v22
	v_and_b32_e32 v15, 0xffff0000, v9
	v_lshlrev_b32_e32 v14, 16, v9
	v_add_f32_e32 v2, v6, v3
	s_waitcnt vmcnt(0)
	v_and_b32_e32 v9, 0xffff0000, v10
	v_lshlrev_b32_e32 v8, 16, v10
	v_and_b32_e32 v17, 0xffff0000, v11
	v_lshlrev_b32_e32 v16, 16, v11
	;; [unrolled: 2-line block ×4, first 2 shown]
	v_pk_mul_f32 v[12:13], v[14:15], v[14:15]
	v_add_f32_e32 v2, v7, v2
	v_add_f32_e32 v2, v12, v2
	v_pk_mul_f32 v[8:9], v[8:9], v[8:9]
	v_add_f32_e32 v2, v13, v2
	v_add_f32_e32 v2, v8, v2
	;; [unrolled: 3-line block ×5, first 2 shown]
	v_add_f32_e32 v3, v17, v2
	s_andn2_b64 exec, exec, s[4:5]
	s_cbranch_execnz .LBB25_17
; %bb.18:
	s_or_b64 exec, exec, s[4:5]
.LBB25_19:
	s_or_b64 exec, exec, s[8:9]
.LBB25_20:
	v_mbcnt_lo_u32_b32 v1, -1, 0
	v_mbcnt_hi_u32_b32 v1, -1, v1
	v_and_b32_e32 v2, 63, v1
	v_cmp_ne_u32_e32 vcc, 63, v2
	v_and_b32_e32 v5, 0x3c0, v0
	v_sub_u32_e64 v5, s33, v5 clamp
	v_addc_co_u32_e32 v4, vcc, 0, v1, vcc
	v_lshlrev_b32_e32 v4, 2, v4
	ds_bpermute_b32 v4, v4, v3
	v_add_u32_e32 v6, 1, v1
	v_cmp_lt_u32_e32 vcc, v6, v5
	v_add_u32_e32 v6, 2, v1
	s_waitcnt lgkmcnt(0)
	v_add_f32_e32 v4, v3, v4
	v_cndmask_b32_e32 v3, v3, v4, vcc
	v_cmp_gt_u32_e32 vcc, 62, v2
	s_nop 1
	v_cndmask_b32_e64 v4, 0, 1, vcc
	v_lshlrev_b32_e32 v4, 1, v4
	v_add_lshl_u32 v4, v4, v1, 2
	ds_bpermute_b32 v4, v4, v3
	v_cmp_lt_u32_e32 vcc, v6, v5
	v_add_u32_e32 v6, 4, v1
	s_waitcnt lgkmcnt(0)
	v_add_f32_e32 v4, v3, v4
	v_cndmask_b32_e32 v3, v3, v4, vcc
	v_cmp_gt_u32_e32 vcc, 60, v2
	s_nop 1
	v_cndmask_b32_e64 v4, 0, 1, vcc
	v_lshlrev_b32_e32 v4, 2, v4
	v_add_lshl_u32 v4, v4, v1, 2
	ds_bpermute_b32 v4, v4, v3
	;; [unrolled: 11-line block ×4, first 2 shown]
	v_cmp_lt_u32_e32 vcc, v6, v5
	s_waitcnt lgkmcnt(0)
	v_add_f32_e32 v4, v3, v4
	v_cndmask_b32_e32 v3, v3, v4, vcc
	v_cmp_gt_u32_e32 vcc, 32, v2
	v_add_u32_e32 v4, 32, v1
	s_nop 0
	v_cndmask_b32_e64 v2, 0, 1, vcc
	v_lshlrev_b32_e32 v2, 5, v2
	v_add_lshl_u32 v2, v2, v1, 2
	ds_bpermute_b32 v2, v2, v3
	v_cmp_lt_u32_e32 vcc, v4, v5
	s_waitcnt lgkmcnt(0)
	v_add_f32_e32 v2, v3, v2
	v_cndmask_b32_e32 v2, v3, v2, vcc
	v_cmp_eq_u32_e32 vcc, 0, v1
	s_and_saveexec_b64 s[4:5], vcc
	s_cbranch_execz .LBB25_22
; %bb.21:
	v_lshrrev_b32_e32 v3, 4, v0
	v_and_b32_e32 v3, 60, v3
	ds_write_b32 v3, v2
.LBB25_22:
	s_or_b64 exec, exec, s[4:5]
	v_cmp_gt_u32_e32 vcc, 16, v0
	s_waitcnt lgkmcnt(0)
	s_barrier
	s_and_saveexec_b64 s[6:7], vcc
	s_cbranch_execz .LBB25_24
; %bb.23:
	v_lshlrev_b32_e32 v2, 2, v1
	ds_read_b32 v2, v2
	v_and_b32_e32 v3, 15, v1
	v_cmp_ne_u32_e32 vcc, 15, v3
	s_add_i32 s4, s33, 63
	s_lshr_b32 s8, s4, 6
	v_addc_co_u32_e32 v4, vcc, 0, v1, vcc
	v_lshlrev_b32_e32 v4, 2, v4
	s_waitcnt lgkmcnt(0)
	ds_bpermute_b32 v4, v4, v2
	v_add_u32_e32 v5, 1, v3
	v_cmp_gt_u32_e64 s[4:5], 14, v3
	v_cmp_gt_u32_e32 vcc, s8, v5
	v_add_u32_e32 v6, 2, v3
	v_cndmask_b32_e64 v5, 0, 1, s[4:5]
	s_waitcnt lgkmcnt(0)
	v_add_f32_e32 v4, v2, v4
	v_lshlrev_b32_e32 v5, 1, v5
	v_cndmask_b32_e32 v4, v2, v4, vcc
	v_add_lshl_u32 v5, v5, v1, 2
	ds_bpermute_b32 v5, v5, v4
	v_cmp_gt_u32_e64 s[4:5], s8, v6
	v_add_u32_e32 v6, 4, v3
	s_waitcnt lgkmcnt(0)
	v_add_f32_e32 v5, v4, v5
	v_cndmask_b32_e64 v4, v4, v5, s[4:5]
	v_cmp_gt_u32_e64 s[4:5], 12, v3
	s_nop 1
	v_cndmask_b32_e64 v5, 0, 1, s[4:5]
	v_lshlrev_b32_e32 v5, 2, v5
	v_add_lshl_u32 v5, v5, v1, 2
	ds_bpermute_b32 v5, v5, v4
	v_cmp_gt_u32_e64 s[4:5], s8, v6
	s_waitcnt lgkmcnt(0)
	v_add_f32_e32 v5, v4, v5
	v_cndmask_b32_e64 v4, v4, v5, s[4:5]
	v_cmp_gt_u32_e64 s[4:5], 8, v3
	v_add_u32_e32 v3, 8, v3
	s_nop 0
	v_cndmask_b32_e64 v5, 0, 1, s[4:5]
	v_lshlrev_b32_e32 v5, 3, v5
	v_add_lshl_u32 v1, v5, v1, 2
	ds_bpermute_b32 v1, v1, v4
	v_cmp_gt_u32_e64 s[4:5], s8, v3
	s_waitcnt lgkmcnt(0)
	v_add_f32_e32 v1, v4, v1
	v_cndmask_b32_e64 v1, v4, v1, s[4:5]
	v_cndmask_b32_e32 v2, v2, v1, vcc
.LBB25_24:
	s_or_b64 exec, exec, s[6:7]
	v_cmp_eq_u32_e32 vcc, 0, v0
	s_and_saveexec_b64 s[4:5], vcc
	s_cbranch_execz .LBB25_26
; %bb.25:
	v_cvt_f32_i32_e32 v1, s3
	s_load_dword s8, s[0:1], 0x28
	v_div_scale_f32 v3, s[6:7], v1, v1, v2
	v_rcp_f32_e32 v4, v3
	v_div_scale_f32 v5, vcc, v2, v1, v2
	s_mov_b32 s6, 0x800000
	v_fma_f32 v6, -v3, v4, 1.0
	v_fmac_f32_e32 v4, v6, v4
	v_mul_f32_e32 v6, v5, v4
	v_fma_f32 v7, -v3, v6, v5
	v_fmac_f32_e32 v6, v7, v4
	v_fma_f32 v3, -v3, v6, v5
	v_div_fmas_f32 v3, v3, v4, v6
	v_div_fixup_f32 v1, v3, v1, v2
	s_waitcnt lgkmcnt(0)
	v_add_f32_e32 v1, s8, v1
	v_mul_f32_e32 v2, 0x4b800000, v1
	v_cmp_gt_f32_e32 vcc, s6, v1
	s_nop 1
	v_cndmask_b32_e32 v1, v1, v2, vcc
	v_rsq_f32_e32 v1, v1
	s_nop 0
	v_mul_f32_e32 v2, 0x45800000, v1
	v_cndmask_b32_e32 v1, v1, v2, vcc
	v_mov_b32_e32 v2, 0
	ds_write_b32 v2, v1 offset:64
.LBB25_26:
	s_or_b64 exec, exec, s[4:5]
	s_ashr_i32 s4, s3, 31
	s_lshr_b32 s4, s4, 28
	s_add_i32 s4, s3, s4
	s_ashr_i32 s40, s4, 4
	v_cmp_gt_i32_e32 vcc, s40, v0
	s_waitcnt lgkmcnt(0)
	s_barrier
	s_and_saveexec_b64 s[4:5], vcc
	s_cbranch_execz .LBB25_29
; %bb.27:
	s_load_dwordx4 s[36:39], s[0:1], 0x18
	s_load_dwordx2 s[34:35], s[0:1], 0x0
	s_mul_i32 s2, s2, s3
	v_mov_b32_e32 v11, 0
	ds_read_b32 v1, v11 offset:64
	s_waitcnt lgkmcnt(0)
	s_load_dword s3, s[38:39], 0x0
	s_lshl_b32 s41, s33, 4
	v_lshlrev_b32_e32 v10, 5, v0
	v_lshl_add_u32 v16, v0, 4, s2
	s_lshl_b32 s42, s33, 5
	s_waitcnt lgkmcnt(0)
	v_div_scale_f32 v2, s[0:1], s3, s3, 1.0
	v_rcp_f32_e32 v3, v2
	v_div_scale_f32 v4, vcc, 1.0, s3, 1.0
	s_mov_b64 s[38:39], 0
	v_fma_f32 v5, -v2, v3, 1.0
	v_fmac_f32_e32 v3, v5, v3
	v_mul_f32_e32 v5, v4, v3
	v_fma_f32 v6, -v2, v5, v4
	v_fmac_f32_e32 v5, v6, v3
	v_fma_f32 v2, -v2, v5, v4
	v_div_fmas_f32 v2, v2, v3, v5
	v_div_fixup_f32 v17, v2, s3, 1.0
	s_movk_i32 s43, 0x7fff
	v_mov_b32_e32 v18, 0x7fc00000
	s_mov_b32 s44, 0x7f800000
	s_mov_b32 s45, 0x43700000
	v_mov_b32_e32 v19, 0xc3700000
.LBB25_28:                              ; =>This Inner Loop Header: Depth=1
	v_lshl_add_u64 v[12:13], s[30:31], 0, v[10:11]
	v_lshl_add_u64 v[14:15], s[36:37], 0, v[10:11]
	global_load_dwordx4 v[44:47], v[12:13], off
	global_load_dwordx4 v[48:51], v[14:15], off
	global_load_dwordx4 v[6:9], v[12:13], off offset:16
	global_load_dwordx4 v[2:5], v[14:15], off offset:16
	s_add_u32 s36, s36, s42
	s_addc_u32 s37, s37, 0
	v_add_u32_e32 v0, s33, v0
	s_add_u32 s30, s30, s42
	s_addc_u32 s31, s31, 0
	v_mov_b32_e32 v20, 0
	v_mov_b32_e32 v21, 0
	;; [unrolled: 1-line block ×9, first 2 shown]
	v_add_u32_e32 v22, 1, v16
	v_add_u32_e32 v24, 2, v16
	;; [unrolled: 1-line block ×8, first 2 shown]
	s_waitcnt vmcnt(3)
	v_lshlrev_b32_e32 v43, 16, v44
	v_and_b32_e32 v44, 0xffff0000, v44
	s_waitcnt vmcnt(2)
	v_lshlrev_b32_e32 v42, 16, v48
	v_and_b32_e32 v41, 0xffff0000, v48
	v_lshlrev_b32_e32 v48, 16, v45
	v_lshlrev_b32_e32 v39, 16, v49
	v_and_b32_e32 v45, 0xffff0000, v45
	v_and_b32_e32 v38, 0xffff0000, v49
	v_lshlrev_b32_e32 v49, 16, v46
	v_lshlrev_b32_e32 v14, 16, v51
	v_and_b32_e32 v13, 0xffff0000, v51
	s_waitcnt vmcnt(1)
	v_lshlrev_b32_e32 v51, 16, v6
	v_lshlrev_b32_e32 v55, 16, v8
	s_waitcnt vmcnt(0)
	v_lshlrev_b32_e32 v59, 16, v5
	v_and_b32_e32 v60, 0xffff0000, v5
	v_mul_f32_e32 v5, v1, v44
	v_lshlrev_b32_e32 v57, 16, v4
	v_and_b32_e32 v58, 0xffff0000, v4
	v_mul_f32_e32 v4, v1, v43
	v_mul_f32_e32 v43, v1, v48
	;; [unrolled: 1-line block ×6, first 2 shown]
	v_bfe_u32 v55, v5, 16, 1
	v_add3_u32 v55, v5, v55, s43
	v_cmp_o_f32_e32 vcc, v5, v5
	v_bfe_u32 v5, v43, 16, 1
	v_lshlrev_b32_e32 v37, 16, v50
	v_and_b32_e32 v15, 0xffff0000, v50
	v_lshlrev_b32_e32 v50, 16, v47
	v_lshlrev_b32_e32 v52, 16, v7
	;; [unrolled: 1-line block ×3, first 2 shown]
	v_add3_u32 v5, v43, v5, s43
	v_mul_f32_e32 v48, v1, v50
	v_mul_f32_e32 v50, v1, v52
	;; [unrolled: 1-line block ×3, first 2 shown]
	v_and_b32_e32 v56, 0xffff0000, v5
	v_bfe_u32 v5, v44, 16, 1
	v_add3_u32 v5, v44, v5, s43
	v_and_b32_e32 v46, 0xffff0000, v46
	v_cmp_o_f32_e64 s[0:1], v43, v43
	v_and_b32_e32 v43, 0xffff0000, v5
	v_bfe_u32 v5, v45, 16, 1
	v_mul_f32_e32 v46, v1, v46
	v_add3_u32 v5, v45, v5, s43
	v_cmp_o_f32_e64 s[2:3], v44, v44
	v_and_b32_e32 v44, 0xffff0000, v5
	v_bfe_u32 v5, v46, 16, 1
	v_add3_u32 v5, v46, v5, s43
	v_and_b32_e32 v47, 0xffff0000, v47
	v_cmp_o_f32_e64 s[4:5], v45, v45
	v_and_b32_e32 v45, 0xffff0000, v5
	v_bfe_u32 v5, v48, 16, 1
	v_mul_f32_e32 v47, v1, v47
	v_add3_u32 v5, v48, v5, s43
	v_cmp_o_f32_e64 s[6:7], v46, v46
	;; [unrolled: 10-line block ×3, first 2 shown]
	v_and_b32_e32 v47, 0xffff0000, v5
	v_bfe_u32 v5, v6, 16, 1
	v_add3_u32 v5, v6, v5, s43
	v_and_b32_e32 v7, 0xffff0000, v7
	v_cmp_o_f32_e64 s[12:13], v49, v49
	v_and_b32_e32 v49, 0xffff0000, v5
	v_bfe_u32 v5, v50, 16, 1
	v_mul_f32_e32 v7, v1, v7
	v_add3_u32 v5, v50, v5, s43
	v_and_b32_e32 v61, 0xffff0000, v5
	v_bfe_u32 v5, v7, 16, 1
	v_add3_u32 v5, v7, v5, s43
	v_and_b32_e32 v8, 0xffff0000, v8
	v_cmp_o_f32_e64 s[16:17], v50, v50
	v_and_b32_e32 v50, 0xffff0000, v5
	v_bfe_u32 v5, v51, 16, 1
	v_mul_f32_e32 v8, v1, v8
	v_add3_u32 v5, v51, v5, s43
	;; [unrolled: 9-line block ×3, first 2 shown]
	v_and_b32_e32 v63, 0xffff0000, v5
	v_bfe_u32 v5, v9, 16, 1
	v_add3_u32 v5, v9, v5, s43
	v_cmp_o_f32_e64 s[24:25], v52, v52
	v_and_b32_e32 v52, 0xffff0000, v5
	v_bfe_u32 v5, v4, 16, 1
	v_add3_u32 v5, v4, v5, s43
	v_and_b32_e32 v55, 0xffff0000, v55
	v_and_b32_e32 v5, 0xffff0000, v5
	v_cmp_o_f32_e64 s[28:29], v4, v4
	v_cmp_o_f32_e64 s[14:15], v6, v6
	;; [unrolled: 1-line block ×3, first 2 shown]
	v_cndmask_b32_e64 v5, v18, v5, s[28:29]
	v_cndmask_b32_e32 v6, v18, v55, vcc
	v_and_b32_e32 v54, 0xffff0000, v3
	v_cmp_o_f32_e64 s[22:23], v8, v8
	v_mul_f32_e32 v42, v5, v42
	v_mul_f32_e32 v41, v6, v41
	v_cndmask_b32_e64 v8, v18, v43, s[2:3]
	v_cndmask_b32_e64 v43, v18, v45, s[6:7]
	;; [unrolled: 1-line block ×4, first 2 shown]
	v_and_b32_e32 v40, 0xffff0000, v2
	v_lshlrev_b32_e32 v53, 16, v3
	v_cmp_o_f32_e64 s[26:27], v9, v9
	v_cndmask_b32_e64 v7, v18, v56, s[0:1]
	v_mul_f32_e32 v38, v8, v38
	v_cndmask_b32_e64 v9, v18, v44, s[4:5]
	v_mul_f32_e32 v43, v43, v15
	v_cndmask_b32_e64 v44, v18, v46, s[8:9]
	v_cndmask_b32_e64 v45, v18, v48, s[10:11]
	;; [unrolled: 1-line block ×5, first 2 shown]
	v_cmp_le_i32_e32 vcc, s40, v0
	v_cndmask_b32_e64 v51, v18, v51, s[22:23]
	v_mul_f32_e32 v50, v50, v54
	v_mul_f32_e32 v54, v55, v59
	v_bfe_u32 v55, v42, 16, 1
	v_bfe_u32 v56, v41, 16, 1
	v_mul_f32_e32 v39, v7, v39
	v_mul_f32_e32 v13, v45, v13
	;; [unrolled: 1-line block ×4, first 2 shown]
	s_or_b64 s[38:39], vcc, s[38:39]
	v_cndmask_b32_e64 v53, v18, v62, s[20:21]
	v_mul_f32_e32 v51, v51, v58
	v_bfe_u32 v58, v38, 16, 1
	v_add3_u32 v56, v41, v56, s43
	v_cmp_o_f32_e32 vcc, v41, v41
	v_bfe_u32 v41, v43, 16, 1
	v_add3_u32 v55, v42, v55, s43
	v_lshlrev_b32_e32 v12, 16, v2
	v_mul_f32_e32 v37, v9, v37
	v_cndmask_b32_e64 v52, v18, v52, s[26:27]
	v_mul_f32_e32 v53, v53, v57
	v_bfe_u32 v57, v39, 16, 1
	v_add3_u32 v58, v38, v58, s43
	v_cmp_o_f32_e64 s[2:3], v38, v38
	v_bfe_u32 v38, v13, 16, 1
	v_add3_u32 v41, v43, v41, s43
	v_cmp_o_f32_e64 s[6:7], v43, v43
	v_bfe_u32 v43, v40, 16, 1
	v_and_b32_e32 v55, 0xffff0000, v55
	v_cmp_o_f32_e64 s[28:29], v42, v42
	v_mul_f32_e32 v44, v44, v14
	v_mul_f32_e32 v12, v46, v12
	;; [unrolled: 1-line block ×3, first 2 shown]
	v_bfe_u32 v59, v37, 16, 1
	v_and_b32_e32 v56, 0xffff0000, v56
	v_add3_u32 v57, v39, v57, s43
	v_add3_u32 v38, v13, v38, s43
	v_cmp_o_f32_e64 s[10:11], v13, v13
	v_bfe_u32 v13, v50, 16, 1
	v_add3_u32 v43, v40, v43, s43
	v_cmp_o_f32_e64 s[14:15], v40, v40
	v_bfe_u32 v40, v51, 16, 1
	v_cndmask_b32_e64 v42, v18, v55, s[28:29]
	v_and_b32_e32 v57, 0xffff0000, v57
	v_cmp_o_f32_e64 s[0:1], v39, v39
	v_bfe_u32 v39, v44, 16, 1
	v_add3_u32 v59, v37, v59, s43
	v_cmp_o_f32_e64 s[4:5], v37, v37
	v_bfe_u32 v37, v12, 16, 1
	v_add3_u32 v13, v50, v13, s43
	;; [unrolled: 3-line block ×3, first 2 shown]
	v_cmp_o_f32_e64 s[22:23], v51, v51
	v_cndmask_b32_e32 v51, v18, v56, vcc
	v_mul_f32_e32 v42, v17, v42
	v_and_b32_e32 v58, 0xffff0000, v58
	v_add3_u32 v39, v44, v39, s43
	v_cmp_o_f32_e64 s[8:9], v44, v44
	v_bfe_u32 v44, v48, 16, 1
	v_add3_u32 v37, v12, v37, s43
	v_cmp_o_f32_e64 s[12:13], v12, v12
	v_bfe_u32 v12, v53, 16, 1
	v_add3_u32 v50, v52, v50, s43
	v_cmp_o_f32_e64 s[26:27], v52, v52
	v_cndmask_b32_e64 v52, v18, v57, s[0:1]
	v_mul_f32_e32 v51, v17, v51
	v_min_f32_e32 v42, 0x43600000, v42
	v_and_b32_e32 v59, 0xffff0000, v59
	v_add3_u32 v44, v48, v44, s43
	v_cmp_o_f32_e64 s[16:17], v48, v48
	v_bfe_u32 v48, v54, 16, 1
	v_add3_u32 v12, v53, v12, s43
	v_cmp_o_f32_e64 s[20:21], v53, v53
	v_cndmask_b32_e64 v53, v18, v58, s[2:3]
	v_mul_f32_e32 v52, v17, v52
	v_min_f32_e32 v51, 0x43600000, v51
	v_max_f32_e32 v42, 0xc3600000, v42
	v_and_b32_e32 v41, 0xffff0000, v41
	v_add3_u32 v48, v54, v48, s43
	v_cmp_o_f32_e64 s[24:25], v54, v54
	v_cndmask_b32_e64 v54, v18, v59, s[4:5]
	v_mul_f32_e32 v53, v17, v53
	v_min_f32_e32 v52, 0x43600000, v52
	v_max_f32_e32 v51, 0xc3600000, v51
	v_med3_f32 v55, v42, s45, v19
	v_cmp_nlg_f32_e64 vcc, |v42|, s44
	v_and_b32_e32 v39, 0xffff0000, v39
	v_cndmask_b32_e64 v41, v18, v41, s[6:7]
	v_mul_f32_e32 v54, v17, v54
	v_min_f32_e32 v53, 0x43600000, v53
	v_max_f32_e32 v52, 0xc3600000, v52
	v_med3_f32 v56, v51, s45, v19
	v_cndmask_b32_e32 v42, v55, v42, vcc
	v_cmp_nlg_f32_e64 vcc, |v51|, s44
	v_and_b32_e32 v38, 0xffff0000, v38
	v_and_b32_e32 v37, 0xffff0000, v37
	;; [unrolled: 1-line block ×4, first 2 shown]
	v_cndmask_b32_e64 v39, v18, v39, s[8:9]
	v_mul_f32_e32 v41, v17, v41
	v_min_f32_e32 v54, 0x43600000, v54
	v_max_f32_e32 v53, 0xc3600000, v53
	v_med3_f32 v57, v52, s45, v19
	v_cndmask_b32_e32 v51, v56, v51, vcc
	v_cmp_nlg_f32_e64 vcc, |v52|, s44
	v_and_b32_e32 v13, 0xffff0000, v13
	v_and_b32_e32 v12, 0xffff0000, v12
	;; [unrolled: 1-line block ×5, first 2 shown]
	v_cndmask_b32_e64 v38, v18, v38, s[10:11]
	v_cndmask_b32_e64 v37, v18, v37, s[12:13]
	;; [unrolled: 1-line block ×4, first 2 shown]
	v_mul_f32_e32 v39, v17, v39
	v_min_f32_e32 v41, 0x43600000, v41
	v_max_f32_e32 v54, 0xc3600000, v54
	v_med3_f32 v58, v53, s45, v19
	v_cndmask_b32_e32 v52, v57, v52, vcc
	v_cmp_nlg_f32_e64 vcc, |v53|, s44
	v_cndmask_b32_e64 v13, v18, v13, s[18:19]
	v_cndmask_b32_e64 v12, v18, v12, s[20:21]
	;; [unrolled: 1-line block ×5, first 2 shown]
	v_mul_f32_e32 v38, v17, v38
	v_mul_f32_e32 v37, v17, v37
	;; [unrolled: 1-line block ×4, first 2 shown]
	v_min_f32_e32 v39, 0x43600000, v39
	v_max_f32_e32 v41, 0xc3600000, v41
	v_med3_f32 v59, v54, s45, v19
	v_cndmask_b32_e32 v53, v58, v53, vcc
	v_cmp_nlg_f32_e64 vcc, |v54|, s44
	v_mul_f32_e32 v13, v17, v13
	v_mul_f32_e32 v12, v17, v12
	;; [unrolled: 1-line block ×5, first 2 shown]
	v_min_f32_e32 v38, 0x43600000, v38
	v_min_f32_e32 v37, 0x43600000, v37
	;; [unrolled: 1-line block ×4, first 2 shown]
	v_max_f32_e32 v39, 0xc3600000, v39
	v_med3_f32 v55, v41, s45, v19
	v_cndmask_b32_e32 v54, v59, v54, vcc
	v_cmp_nlg_f32_e64 vcc, |v41|, s44
	v_min_f32_e32 v13, 0x43600000, v13
	v_min_f32_e32 v12, 0x43600000, v12
	v_min_f32_e32 v40, 0x43600000, v40
	v_min_f32_e32 v48, 0x43600000, v48
	v_min_f32_e32 v50, 0x43600000, v50
	v_max_f32_e32 v38, 0xc3600000, v38
	v_max_f32_e32 v37, 0xc3600000, v37
	;; [unrolled: 1-line block ×4, first 2 shown]
	v_med3_f32 v56, v39, s45, v19
	v_cndmask_b32_e32 v41, v55, v41, vcc
	v_cmp_nlg_f32_e64 vcc, |v39|, s44
	v_cvt_pk_fp8_f32 v20, v42, v42
	v_max_f32_e32 v13, 0xc3600000, v13
	v_max_f32_e32 v12, 0xc3600000, v12
	;; [unrolled: 1-line block ×5, first 2 shown]
	v_med3_f32 v57, v38, s45, v19
	v_med3_f32 v58, v37, s45, v19
	;; [unrolled: 1-line block ×4, first 2 shown]
	v_cndmask_b32_e32 v39, v56, v39, vcc
	v_cmp_nlg_f32_e64 vcc, |v38|, s44
	v_cmp_nlg_f32_e64 s[0:1], |v37|, s44
	v_cmp_nlg_f32_e64 s[2:3], |v43|, s44
	;; [unrolled: 1-line block ×3, first 2 shown]
	v_cvt_pk_fp8_f32 v21, v51, v51
	v_med3_f32 v56, v13, s45, v19
	v_cndmask_b32_e32 v38, v57, v38, vcc
	v_med3_f32 v57, v12, s45, v19
	v_cmp_nlg_f32_e64 vcc, |v12|, s44
	v_cndmask_b32_e64 v37, v58, v37, s[0:1]
	v_med3_f32 v58, v40, s45, v19
	v_cmp_nlg_f32_e64 s[0:1], |v40|, s44
	v_cndmask_b32_e64 v43, v59, v43, s[2:3]
	v_med3_f32 v59, v48, s45, v19
	v_cmp_nlg_f32_e64 s[2:3], |v48|, s44
	;; [unrolled: 3-line block ×3, first 2 shown]
	v_cmp_nlg_f32_e64 s[6:7], |v13|, s44
	v_cvt_pk_fp8_f32 v23, v52, v52
	v_mov_b32_e32 v2, 0
	v_mov_b32_e32 v4, 0
	;; [unrolled: 1-line block ×7, first 2 shown]
	v_cndmask_b32_e64 v13, v56, v13, s[6:7]
	v_cndmask_b32_e32 v12, v57, v12, vcc
	v_cndmask_b32_e64 v40, v58, v40, s[0:1]
	v_cndmask_b32_e64 v48, v59, v48, s[2:3]
	;; [unrolled: 1-line block ×3, first 2 shown]
	v_cvt_pk_fp8_f32 v25, v53, v53
	v_add_u32_e32 v3, 9, v16
	v_add_u32_e32 v5, 10, v16
	;; [unrolled: 1-line block ×7, first 2 shown]
	v_cvt_pk_fp8_f32 v27, v54, v54
	v_cvt_pk_fp8_f32 v29, v41, v41
	;; [unrolled: 1-line block ×12, first 2 shown]
	global_store_byte v16, v20, s[34:35]
	global_store_byte v22, v21, s[34:35]
	;; [unrolled: 1-line block ×16, first 2 shown]
	v_add_u32_e32 v16, s41, v16
	s_andn2_b64 exec, exec, s[38:39]
	s_cbranch_execnz .LBB25_28
.LBB25_29:
	s_endpgm
	.section	.rodata,"a",@progbits
	.p2align	6, 0x0
	.amdhsa_kernel _ZN4vllm32rms_norm_static_fp8_quant_kernelIN3c108BFloat16ENS1_15Float8_e4m3fnuzELi16EEEvPT0_PKT_iS8_PKffii
		.amdhsa_group_segment_fixed_size 68
		.amdhsa_private_segment_fixed_size 0
		.amdhsa_kernarg_size 312
		.amdhsa_user_sgpr_count 2
		.amdhsa_user_sgpr_dispatch_ptr 0
		.amdhsa_user_sgpr_queue_ptr 0
		.amdhsa_user_sgpr_kernarg_segment_ptr 1
		.amdhsa_user_sgpr_dispatch_id 0
		.amdhsa_user_sgpr_kernarg_preload_length 0
		.amdhsa_user_sgpr_kernarg_preload_offset 0
		.amdhsa_user_sgpr_private_segment_size 0
		.amdhsa_uses_dynamic_stack 0
		.amdhsa_enable_private_segment 0
		.amdhsa_system_sgpr_workgroup_id_x 1
		.amdhsa_system_sgpr_workgroup_id_y 0
		.amdhsa_system_sgpr_workgroup_id_z 0
		.amdhsa_system_sgpr_workgroup_info 0
		.amdhsa_system_vgpr_workitem_id 0
		.amdhsa_next_free_vgpr 64
		.amdhsa_next_free_sgpr 46
		.amdhsa_accum_offset 64
		.amdhsa_reserve_vcc 1
		.amdhsa_float_round_mode_32 0
		.amdhsa_float_round_mode_16_64 0
		.amdhsa_float_denorm_mode_32 3
		.amdhsa_float_denorm_mode_16_64 3
		.amdhsa_dx10_clamp 1
		.amdhsa_ieee_mode 1
		.amdhsa_fp16_overflow 0
		.amdhsa_tg_split 0
		.amdhsa_exception_fp_ieee_invalid_op 0
		.amdhsa_exception_fp_denorm_src 0
		.amdhsa_exception_fp_ieee_div_zero 0
		.amdhsa_exception_fp_ieee_overflow 0
		.amdhsa_exception_fp_ieee_underflow 0
		.amdhsa_exception_fp_ieee_inexact 0
		.amdhsa_exception_int_div_zero 0
	.end_amdhsa_kernel
	.section	.text._ZN4vllm32rms_norm_static_fp8_quant_kernelIN3c108BFloat16ENS1_15Float8_e4m3fnuzELi16EEEvPT0_PKT_iS8_PKffii,"axG",@progbits,_ZN4vllm32rms_norm_static_fp8_quant_kernelIN3c108BFloat16ENS1_15Float8_e4m3fnuzELi16EEEvPT0_PKT_iS8_PKffii,comdat
.Lfunc_end25:
	.size	_ZN4vllm32rms_norm_static_fp8_quant_kernelIN3c108BFloat16ENS1_15Float8_e4m3fnuzELi16EEEvPT0_PKT_iS8_PKffii, .Lfunc_end25-_ZN4vllm32rms_norm_static_fp8_quant_kernelIN3c108BFloat16ENS1_15Float8_e4m3fnuzELi16EEEvPT0_PKT_iS8_PKffii
                                        ; -- End function
	.section	.AMDGPU.csdata,"",@progbits
; Kernel info:
; codeLenInByte = 4848
; NumSgprs: 52
; NumVgprs: 64
; NumAgprs: 0
; TotalNumVgprs: 64
; ScratchSize: 0
; MemoryBound: 0
; FloatMode: 240
; IeeeMode: 1
; LDSByteSize: 68 bytes/workgroup (compile time only)
; SGPRBlocks: 6
; VGPRBlocks: 7
; NumSGPRsForWavesPerEU: 52
; NumVGPRsForWavesPerEU: 64
; AccumOffset: 64
; Occupancy: 8
; WaveLimiterHint : 0
; COMPUTE_PGM_RSRC2:SCRATCH_EN: 0
; COMPUTE_PGM_RSRC2:USER_SGPR: 2
; COMPUTE_PGM_RSRC2:TRAP_HANDLER: 0
; COMPUTE_PGM_RSRC2:TGID_X_EN: 1
; COMPUTE_PGM_RSRC2:TGID_Y_EN: 0
; COMPUTE_PGM_RSRC2:TGID_Z_EN: 0
; COMPUTE_PGM_RSRC2:TIDIG_COMP_CNT: 0
; COMPUTE_PGM_RSRC3_GFX90A:ACCUM_OFFSET: 15
; COMPUTE_PGM_RSRC3_GFX90A:TG_SPLIT: 0
	.section	.text._ZN4vllm32rms_norm_static_fp8_quant_kernelIN3c108BFloat16ENS1_15Float8_e4m3fnuzELi8EEEvPT0_PKT_iS8_PKffii,"axG",@progbits,_ZN4vllm32rms_norm_static_fp8_quant_kernelIN3c108BFloat16ENS1_15Float8_e4m3fnuzELi8EEEvPT0_PKT_iS8_PKffii,comdat
	.protected	_ZN4vllm32rms_norm_static_fp8_quant_kernelIN3c108BFloat16ENS1_15Float8_e4m3fnuzELi8EEEvPT0_PKT_iS8_PKffii ; -- Begin function _ZN4vllm32rms_norm_static_fp8_quant_kernelIN3c108BFloat16ENS1_15Float8_e4m3fnuzELi8EEEvPT0_PKT_iS8_PKffii
	.globl	_ZN4vllm32rms_norm_static_fp8_quant_kernelIN3c108BFloat16ENS1_15Float8_e4m3fnuzELi8EEEvPT0_PKT_iS8_PKffii
	.p2align	8
	.type	_ZN4vllm32rms_norm_static_fp8_quant_kernelIN3c108BFloat16ENS1_15Float8_e4m3fnuzELi8EEEvPT0_PKT_iS8_PKffii,@function
_ZN4vllm32rms_norm_static_fp8_quant_kernelIN3c108BFloat16ENS1_15Float8_e4m3fnuzELi8EEEvPT0_PKT_iS8_PKffii: ; @_ZN4vllm32rms_norm_static_fp8_quant_kernelIN3c108BFloat16ENS1_15Float8_e4m3fnuzELi8EEEvPT0_PKT_iS8_PKffii
; %bb.0:
	s_load_dword s6, s[0:1], 0x10
	s_load_dwordx2 s[4:5], s[0:1], 0x8
	s_load_dword s3, s[0:1], 0x30
	s_load_dword s10, s[0:1], 0x44
	s_mov_b32 s9, 0
	s_waitcnt lgkmcnt(0)
	s_mul_i32 s8, s2, s6
	s_lshl_b64 s[6:7], s[8:9], 1
	s_add_u32 s14, s4, s6
	s_addc_u32 s15, s5, s7
	s_and_b32 s22, s10, 0xffff
	s_and_b32 s8, s14, 15
	s_cmp_lg_u64 s[8:9], 0
	s_cselect_b64 s[8:9], -1, 0
	s_and_b32 s10, s3, 7
	s_cmp_lg_u32 s10, 0
	s_cselect_b64 s[10:11], -1, 0
	s_or_b64 s[8:9], s[8:9], s[10:11]
	s_and_b64 vcc, exec, s[8:9]
	s_cbranch_vccz .LBB26_14
; %bb.1:
	s_sub_i32 s8, 0, s14
	s_bfe_u32 s8, s8, 0x30001
	s_min_i32 s8, s8, s3
	v_cmp_gt_i32_e32 vcc, s8, v0
	v_mov_b32_e32 v3, 0
	s_and_saveexec_b64 s[10:11], vcc
	s_cbranch_execz .LBB26_5
; %bb.2:
	s_add_u32 s16, s4, s6
	v_lshlrev_b32_e32 v2, 1, v0
	v_mov_b32_e32 v3, 0
	s_addc_u32 s17, s5, s7
	s_mov_b32 s13, 0
	v_lshl_add_u64 v[4:5], s[16:17], 0, v[2:3]
	s_lshl_b32 s12, s22, 1
	s_mov_b64 s[16:17], 0
	v_mov_b32_e32 v1, v0
.LBB26_3:                               ; =>This Inner Loop Header: Depth=1
	global_load_ushort v2, v[4:5], off
	v_add_u32_e32 v1, s22, v1
	v_cmp_le_i32_e32 vcc, s8, v1
	v_lshl_add_u64 v[4:5], v[4:5], 0, s[12:13]
	s_or_b64 s[16:17], vcc, s[16:17]
	s_waitcnt vmcnt(0)
	v_lshlrev_b32_e32 v2, 16, v2
	v_fmac_f32_e32 v3, v2, v2
	s_andn2_b64 exec, exec, s[16:17]
	s_cbranch_execnz .LBB26_3
; %bb.4:
	s_or_b64 exec, exec, s[16:17]
.LBB26_5:
	s_or_b64 exec, exec, s[10:11]
	s_sub_i32 s18, s3, s8
	s_ashr_i32 s10, s18, 31
	s_lshr_b32 s10, s10, 29
	s_add_i32 s10, s18, s10
	s_ashr_i32 s19, s10, 3
	s_ashr_i32 s9, s8, 31
	v_cmp_gt_i32_e32 vcc, s19, v0
	s_and_saveexec_b64 s[10:11], vcc
	s_cbranch_execz .LBB26_9
; %bb.6:
	s_lshl_b64 s[16:17], s[8:9], 1
	s_add_u32 s12, s4, s6
	s_addc_u32 s20, s5, s7
	s_add_u32 s16, s12, s16
	v_lshlrev_b32_e32 v4, 4, v0
	v_mov_b32_e32 v5, 0
	s_addc_u32 s17, s20, s17
	v_lshl_add_u64 v[4:5], s[16:17], 0, v[4:5]
	s_mov_b32 s13, 0
	v_lshl_add_u64 v[4:5], v[4:5], 0, 8
	s_lshl_b32 s12, s22, 4
	s_mov_b64 s[16:17], 0
	v_mov_b32_e32 v1, v0
.LBB26_7:                               ; =>This Inner Loop Header: Depth=1
	global_load_dwordx4 v[6:9], v[4:5], off offset:-8
	v_add_u32_e32 v1, s22, v1
	v_cmp_le_i32_e32 vcc, s19, v1
	v_lshl_add_u64 v[4:5], v[4:5], 0, s[12:13]
	s_or_b64 s[16:17], vcc, s[16:17]
	s_waitcnt vmcnt(0)
	v_and_b32_e32 v11, 0xffff0000, v6
	v_lshlrev_b32_e32 v10, 16, v6
	v_and_b32_e32 v13, 0xffff0000, v7
	v_lshlrev_b32_e32 v12, 16, v7
	;; [unrolled: 2-line block ×4, first 2 shown]
	v_pk_mul_f32 v[8:9], v[10:11], v[10:11]
	v_pk_mul_f32 v[10:11], v[12:13], v[12:13]
	v_add_f32_e32 v2, v3, v8
	v_add_f32_e32 v2, v2, v9
	;; [unrolled: 1-line block ×3, first 2 shown]
	v_pk_mul_f32 v[6:7], v[6:7], v[6:7]
	v_add_f32_e32 v2, v2, v11
	v_add_f32_e32 v2, v2, v6
	v_pk_mul_f32 v[12:13], v[14:15], v[14:15]
	v_add_f32_e32 v2, v2, v7
	v_add_f32_e32 v2, v2, v12
	;; [unrolled: 1-line block ×3, first 2 shown]
	s_andn2_b64 exec, exec, s[16:17]
	s_cbranch_execnz .LBB26_7
; %bb.8:
	s_or_b64 exec, exec, s[16:17]
.LBB26_9:
	s_or_b64 exec, exec, s[10:11]
	v_lshl_add_u32 v4, s19, 3, v0
	v_cmp_gt_i32_e32 vcc, s18, v4
	s_and_saveexec_b64 s[10:11], vcc
	s_cbranch_execz .LBB26_13
; %bb.10:
	s_lshl_b64 s[8:9], s[8:9], 1
	s_add_u32 s12, s4, s6
	s_addc_u32 s13, s5, s7
	s_add_u32 s8, s12, s8
	v_ashrrev_i32_e32 v5, 31, v4
	s_addc_u32 s9, s13, s9
	v_lshl_add_u64 v[6:7], v[4:5], 1, s[8:9]
	s_lshl_b32 s8, s22, 1
	s_mov_b32 s9, 0
	s_mov_b64 s[12:13], 0
.LBB26_11:                              ; =>This Inner Loop Header: Depth=1
	global_load_ushort v1, v[6:7], off
	v_add_u32_e32 v4, s22, v4
	v_cmp_le_i32_e32 vcc, s18, v4
	v_lshl_add_u64 v[6:7], v[6:7], 0, s[8:9]
	s_or_b64 s[12:13], vcc, s[12:13]
	s_waitcnt vmcnt(0)
	v_lshlrev_b32_e32 v1, 16, v1
	v_fmac_f32_e32 v3, v1, v1
	s_andn2_b64 exec, exec, s[12:13]
	s_cbranch_execnz .LBB26_11
; %bb.12:
	s_or_b64 exec, exec, s[12:13]
.LBB26_13:
	s_or_b64 exec, exec, s[10:11]
	s_branch .LBB26_20
.LBB26_14:
                                        ; implicit-def: $vgpr3
	s_cbranch_execz .LBB26_20
; %bb.15:
	s_ashr_i32 s12, s3, 3
	v_cmp_gt_i32_e32 vcc, s12, v0
	v_mov_b32_e32 v3, 0
	s_and_saveexec_b64 s[8:9], vcc
	s_cbranch_execz .LBB26_19
; %bb.16:
	s_add_u32 s4, s4, s6
	v_lshlrev_b32_e32 v2, 4, v0
	v_mov_b32_e32 v3, 0
	s_addc_u32 s5, s5, s7
	v_lshl_add_u64 v[4:5], s[4:5], 0, v[2:3]
	s_mov_b32 s11, 0
	v_lshl_add_u64 v[4:5], v[4:5], 0, 8
	s_lshl_b32 s10, s22, 4
	s_mov_b64 s[4:5], 0
	v_mov_b32_e32 v1, v0
.LBB26_17:                              ; =>This Inner Loop Header: Depth=1
	global_load_dwordx4 v[6:9], v[4:5], off offset:-8
	v_add_u32_e32 v1, s22, v1
	v_cmp_le_i32_e32 vcc, s12, v1
	v_lshl_add_u64 v[4:5], v[4:5], 0, s[10:11]
	s_or_b64 s[4:5], vcc, s[4:5]
	s_waitcnt vmcnt(0)
	v_and_b32_e32 v11, 0xffff0000, v6
	v_lshlrev_b32_e32 v10, 16, v6
	v_and_b32_e32 v13, 0xffff0000, v7
	v_lshlrev_b32_e32 v12, 16, v7
	;; [unrolled: 2-line block ×4, first 2 shown]
	v_pk_mul_f32 v[8:9], v[10:11], v[10:11]
	v_pk_mul_f32 v[10:11], v[12:13], v[12:13]
	v_add_f32_e32 v2, v3, v8
	v_add_f32_e32 v2, v9, v2
	;; [unrolled: 1-line block ×3, first 2 shown]
	v_pk_mul_f32 v[6:7], v[6:7], v[6:7]
	v_add_f32_e32 v2, v11, v2
	v_add_f32_e32 v2, v6, v2
	v_pk_mul_f32 v[12:13], v[14:15], v[14:15]
	v_add_f32_e32 v2, v7, v2
	v_add_f32_e32 v2, v12, v2
	;; [unrolled: 1-line block ×3, first 2 shown]
	s_andn2_b64 exec, exec, s[4:5]
	s_cbranch_execnz .LBB26_17
; %bb.18:
	s_or_b64 exec, exec, s[4:5]
.LBB26_19:
	s_or_b64 exec, exec, s[8:9]
.LBB26_20:
	v_mbcnt_lo_u32_b32 v1, -1, 0
	v_mbcnt_hi_u32_b32 v1, -1, v1
	v_and_b32_e32 v2, 63, v1
	v_cmp_ne_u32_e32 vcc, 63, v2
	v_and_b32_e32 v5, 0x3c0, v0
	v_sub_u32_e64 v5, s22, v5 clamp
	v_addc_co_u32_e32 v4, vcc, 0, v1, vcc
	v_lshlrev_b32_e32 v4, 2, v4
	ds_bpermute_b32 v4, v4, v3
	v_add_u32_e32 v6, 1, v1
	v_cmp_lt_u32_e32 vcc, v6, v5
	v_add_u32_e32 v6, 2, v1
	s_waitcnt lgkmcnt(0)
	v_add_f32_e32 v4, v3, v4
	v_cndmask_b32_e32 v3, v3, v4, vcc
	v_cmp_gt_u32_e32 vcc, 62, v2
	s_nop 1
	v_cndmask_b32_e64 v4, 0, 1, vcc
	v_lshlrev_b32_e32 v4, 1, v4
	v_add_lshl_u32 v4, v4, v1, 2
	ds_bpermute_b32 v4, v4, v3
	v_cmp_lt_u32_e32 vcc, v6, v5
	v_add_u32_e32 v6, 4, v1
	s_waitcnt lgkmcnt(0)
	v_add_f32_e32 v4, v3, v4
	v_cndmask_b32_e32 v3, v3, v4, vcc
	v_cmp_gt_u32_e32 vcc, 60, v2
	s_nop 1
	v_cndmask_b32_e64 v4, 0, 1, vcc
	v_lshlrev_b32_e32 v4, 2, v4
	v_add_lshl_u32 v4, v4, v1, 2
	ds_bpermute_b32 v4, v4, v3
	;; [unrolled: 11-line block ×4, first 2 shown]
	v_cmp_lt_u32_e32 vcc, v6, v5
	s_waitcnt lgkmcnt(0)
	v_add_f32_e32 v4, v3, v4
	v_cndmask_b32_e32 v3, v3, v4, vcc
	v_cmp_gt_u32_e32 vcc, 32, v2
	v_add_u32_e32 v4, 32, v1
	s_nop 0
	v_cndmask_b32_e64 v2, 0, 1, vcc
	v_lshlrev_b32_e32 v2, 5, v2
	v_add_lshl_u32 v2, v2, v1, 2
	ds_bpermute_b32 v2, v2, v3
	v_cmp_lt_u32_e32 vcc, v4, v5
	s_waitcnt lgkmcnt(0)
	v_add_f32_e32 v2, v3, v2
	v_cndmask_b32_e32 v2, v3, v2, vcc
	v_cmp_eq_u32_e32 vcc, 0, v1
	s_and_saveexec_b64 s[4:5], vcc
	s_cbranch_execz .LBB26_22
; %bb.21:
	v_lshrrev_b32_e32 v3, 4, v0
	v_and_b32_e32 v3, 60, v3
	ds_write_b32 v3, v2
.LBB26_22:
	s_or_b64 exec, exec, s[4:5]
	v_cmp_gt_u32_e32 vcc, 16, v0
	s_waitcnt lgkmcnt(0)
	s_barrier
	s_and_saveexec_b64 s[6:7], vcc
	s_cbranch_execz .LBB26_24
; %bb.23:
	v_lshlrev_b32_e32 v2, 2, v1
	ds_read_b32 v2, v2
	v_and_b32_e32 v3, 15, v1
	v_cmp_ne_u32_e32 vcc, 15, v3
	s_add_i32 s4, s22, 63
	s_lshr_b32 s8, s4, 6
	v_addc_co_u32_e32 v4, vcc, 0, v1, vcc
	v_lshlrev_b32_e32 v4, 2, v4
	s_waitcnt lgkmcnt(0)
	ds_bpermute_b32 v4, v4, v2
	v_add_u32_e32 v5, 1, v3
	v_cmp_gt_u32_e64 s[4:5], 14, v3
	v_cmp_gt_u32_e32 vcc, s8, v5
	v_add_u32_e32 v6, 2, v3
	v_cndmask_b32_e64 v5, 0, 1, s[4:5]
	s_waitcnt lgkmcnt(0)
	v_add_f32_e32 v4, v2, v4
	v_lshlrev_b32_e32 v5, 1, v5
	v_cndmask_b32_e32 v4, v2, v4, vcc
	v_add_lshl_u32 v5, v5, v1, 2
	ds_bpermute_b32 v5, v5, v4
	v_cmp_gt_u32_e64 s[4:5], s8, v6
	v_add_u32_e32 v6, 4, v3
	s_waitcnt lgkmcnt(0)
	v_add_f32_e32 v5, v4, v5
	v_cndmask_b32_e64 v4, v4, v5, s[4:5]
	v_cmp_gt_u32_e64 s[4:5], 12, v3
	s_nop 1
	v_cndmask_b32_e64 v5, 0, 1, s[4:5]
	v_lshlrev_b32_e32 v5, 2, v5
	v_add_lshl_u32 v5, v5, v1, 2
	ds_bpermute_b32 v5, v5, v4
	v_cmp_gt_u32_e64 s[4:5], s8, v6
	s_waitcnt lgkmcnt(0)
	v_add_f32_e32 v5, v4, v5
	v_cndmask_b32_e64 v4, v4, v5, s[4:5]
	v_cmp_gt_u32_e64 s[4:5], 8, v3
	v_add_u32_e32 v3, 8, v3
	s_nop 0
	v_cndmask_b32_e64 v5, 0, 1, s[4:5]
	v_lshlrev_b32_e32 v5, 3, v5
	v_add_lshl_u32 v1, v5, v1, 2
	ds_bpermute_b32 v1, v1, v4
	v_cmp_gt_u32_e64 s[4:5], s8, v3
	s_waitcnt lgkmcnt(0)
	v_add_f32_e32 v1, v4, v1
	v_cndmask_b32_e64 v1, v4, v1, s[4:5]
	v_cndmask_b32_e32 v2, v2, v1, vcc
.LBB26_24:
	s_or_b64 exec, exec, s[6:7]
	v_cmp_eq_u32_e32 vcc, 0, v0
	s_and_saveexec_b64 s[4:5], vcc
	s_cbranch_execz .LBB26_26
; %bb.25:
	v_cvt_f32_i32_e32 v1, s3
	s_load_dword s8, s[0:1], 0x28
	v_div_scale_f32 v3, s[6:7], v1, v1, v2
	v_rcp_f32_e32 v4, v3
	v_div_scale_f32 v5, vcc, v2, v1, v2
	s_mov_b32 s6, 0x800000
	v_fma_f32 v6, -v3, v4, 1.0
	v_fmac_f32_e32 v4, v6, v4
	v_mul_f32_e32 v6, v5, v4
	v_fma_f32 v7, -v3, v6, v5
	v_fmac_f32_e32 v6, v7, v4
	v_fma_f32 v3, -v3, v6, v5
	v_div_fmas_f32 v3, v3, v4, v6
	v_div_fixup_f32 v1, v3, v1, v2
	s_waitcnt lgkmcnt(0)
	v_add_f32_e32 v1, s8, v1
	v_mul_f32_e32 v2, 0x4b800000, v1
	v_cmp_gt_f32_e32 vcc, s6, v1
	s_nop 1
	v_cndmask_b32_e32 v1, v1, v2, vcc
	v_rsq_f32_e32 v1, v1
	s_nop 0
	v_mul_f32_e32 v2, 0x45800000, v1
	v_cndmask_b32_e32 v1, v1, v2, vcc
	v_mov_b32_e32 v2, 0
	ds_write_b32 v2, v1 offset:64
.LBB26_26:
	s_or_b64 exec, exec, s[4:5]
	s_ashr_i32 s4, s3, 31
	s_lshr_b32 s4, s4, 29
	s_add_i32 s4, s3, s4
	s_ashr_i32 s23, s4, 3
	v_cmp_gt_i32_e32 vcc, s23, v0
	s_waitcnt lgkmcnt(0)
	s_barrier
	s_and_saveexec_b64 s[4:5], vcc
	s_cbranch_execz .LBB26_29
; %bb.27:
	s_load_dwordx4 s[16:19], s[0:1], 0x18
	s_load_dwordx2 s[20:21], s[0:1], 0x0
	s_mul_i32 s2, s2, s3
	v_mov_b32_e32 v3, 0
	ds_read_b32 v1, v3 offset:64
	s_waitcnt lgkmcnt(0)
	s_load_dword s3, s[18:19], 0x0
	s_lshl_b32 s24, s22, 3
	v_lshlrev_b32_e32 v2, 4, v0
	v_lshl_add_u32 v8, v0, 3, s2
	s_lshl_b32 s25, s22, 4
	s_waitcnt lgkmcnt(0)
	v_div_scale_f32 v4, s[0:1], s3, s3, 1.0
	v_rcp_f32_e32 v5, v4
	v_div_scale_f32 v6, vcc, 1.0, s3, 1.0
	s_mov_b64 s[18:19], 0
	v_fma_f32 v7, -v4, v5, 1.0
	v_fmac_f32_e32 v5, v7, v5
	v_mul_f32_e32 v7, v6, v5
	v_fma_f32 v9, -v4, v7, v6
	v_fmac_f32_e32 v7, v9, v5
	v_fma_f32 v4, -v4, v7, v6
	v_div_fmas_f32 v4, v4, v5, v7
	v_div_fixup_f32 v9, v4, s3, 1.0
	s_movk_i32 s26, 0x7fff
	v_mov_b32_e32 v10, 0x7fc00000
	s_mov_b32 s27, 0x7f800000
	s_mov_b32 s28, 0x43700000
	v_mov_b32_e32 v11, 0xc3700000
.LBB26_28:                              ; =>This Inner Loop Header: Depth=1
	v_lshl_add_u64 v[4:5], s[14:15], 0, v[2:3]
	v_lshl_add_u64 v[6:7], s[16:17], 0, v[2:3]
	global_load_dwordx4 v[22:25], v[4:5], off
	global_load_dwordx4 v[26:29], v[6:7], off
	s_add_u32 s16, s16, s25
	s_addc_u32 s17, s17, 0
	v_add_u32_e32 v0, s22, v0
	s_add_u32 s14, s14, s25
	v_cmp_le_i32_e32 vcc, s23, v0
	s_addc_u32 s15, s15, 0
	s_or_b64 s[18:19], vcc, s[18:19]
	v_mov_b32_e32 v12, 0
	v_mov_b32_e32 v13, 0
	;; [unrolled: 1-line block ×8, first 2 shown]
	v_add_u32_e32 v14, 1, v8
	v_add_u32_e32 v16, 2, v8
	;; [unrolled: 1-line block ×7, first 2 shown]
	s_waitcnt vmcnt(1)
	v_lshlrev_b32_e32 v4, 16, v22
	v_and_b32_e32 v6, 0xffff0000, v22
	v_lshlrev_b32_e32 v22, 16, v23
	v_mul_f32_e32 v4, v1, v4
	v_and_b32_e32 v23, 0xffff0000, v23
	v_mul_f32_e32 v6, v1, v6
	v_mul_f32_e32 v22, v1, v22
	v_bfe_u32 v39, v4, 16, 1
	v_lshlrev_b32_e32 v35, 16, v24
	v_and_b32_e32 v24, 0xffff0000, v24
	v_lshlrev_b32_e32 v37, 16, v25
	v_and_b32_e32 v25, 0xffff0000, v25
	v_mul_f32_e32 v23, v1, v23
	v_bfe_u32 v40, v6, 16, 1
	v_bfe_u32 v41, v22, 16, 1
	v_add3_u32 v39, v4, v39, s26
	v_mul_f32_e32 v35, v1, v35
	v_mul_f32_e32 v24, v1, v24
	v_mul_f32_e32 v25, v1, v25
	v_bfe_u32 v42, v23, 16, 1
	v_add3_u32 v40, v6, v40, s26
	v_add3_u32 v41, v22, v41, s26
	v_and_b32_e32 v39, 0xffff0000, v39
	v_cmp_o_f32_e64 s[12:13], v4, v4
	s_waitcnt vmcnt(0)
	v_lshlrev_b32_e32 v5, 16, v26
	v_mul_f32_e32 v37, v1, v37
	v_bfe_u32 v43, v35, 16, 1
	v_bfe_u32 v44, v24, 16, 1
	;; [unrolled: 1-line block ×3, first 2 shown]
	v_add3_u32 v42, v23, v42, s26
	v_and_b32_e32 v40, 0xffff0000, v40
	v_cmp_o_f32_e32 vcc, v6, v6
	v_and_b32_e32 v6, 0xffff0000, v41
	v_cmp_o_f32_e64 s[0:1], v22, v22
	v_cndmask_b32_e64 v4, v10, v39, s[12:13]
	v_and_b32_e32 v7, 0xffff0000, v26
	v_lshlrev_b32_e32 v26, 16, v27
	v_bfe_u32 v45, v37, 16, 1
	v_add3_u32 v43, v35, v43, s26
	v_add3_u32 v44, v24, v44, s26
	v_add3_u32 v46, v25, v46, s26
	v_and_b32_e32 v22, 0xffff0000, v42
	v_cmp_o_f32_e64 s[2:3], v23, v23
	v_cmp_o_f32_e64 s[10:11], v25, v25
	v_cndmask_b32_e32 v25, v10, v40, vcc
	v_cndmask_b32_e64 v6, v10, v6, s[0:1]
	v_mul_f32_e32 v4, v4, v5
	v_and_b32_e32 v27, 0xffff0000, v27
	v_add3_u32 v45, v37, v45, s26
	v_and_b32_e32 v23, 0xffff0000, v43
	v_cmp_o_f32_e64 s[4:5], v35, v35
	v_and_b32_e32 v35, 0xffff0000, v44
	v_cmp_o_f32_e64 s[6:7], v24, v24
	v_cmp_o_f32_e64 s[8:9], v37, v37
	v_and_b32_e32 v37, 0xffff0000, v46
	v_cndmask_b32_e64 v22, v10, v22, s[2:3]
	v_mul_f32_e32 v5, v25, v7
	v_mul_f32_e32 v6, v6, v26
	v_bfe_u32 v26, v4, 16, 1
	v_lshlrev_b32_e32 v36, 16, v28
	v_and_b32_e32 v28, 0xffff0000, v28
	v_lshlrev_b32_e32 v38, 16, v29
	v_and_b32_e32 v29, 0xffff0000, v29
	v_and_b32_e32 v24, 0xffff0000, v45
	v_cndmask_b32_e64 v23, v10, v23, s[4:5]
	v_cndmask_b32_e64 v35, v10, v35, s[6:7]
	;; [unrolled: 1-line block ×3, first 2 shown]
	v_mul_f32_e32 v7, v22, v27
	v_bfe_u32 v27, v5, 16, 1
	v_add3_u32 v26, v4, v26, s26
	v_cndmask_b32_e64 v24, v10, v24, s[8:9]
	v_mul_f32_e32 v22, v23, v36
	v_mul_f32_e32 v23, v35, v28
	;; [unrolled: 1-line block ×3, first 2 shown]
	v_bfe_u32 v28, v6, 16, 1
	v_add3_u32 v27, v5, v27, s26
	v_and_b32_e32 v26, 0xffff0000, v26
	v_cmp_o_f32_e64 s[12:13], v4, v4
	v_mul_f32_e32 v24, v24, v38
	v_bfe_u32 v29, v7, 16, 1
	v_bfe_u32 v38, v25, 16, 1
	v_add3_u32 v28, v6, v28, s26
	v_and_b32_e32 v27, 0xffff0000, v27
	v_cmp_o_f32_e32 vcc, v5, v5
	v_cndmask_b32_e64 v4, v10, v26, s[12:13]
	v_bfe_u32 v35, v22, 16, 1
	v_bfe_u32 v36, v23, 16, 1
	;; [unrolled: 1-line block ×3, first 2 shown]
	v_add3_u32 v29, v7, v29, s26
	v_add3_u32 v38, v25, v38, s26
	v_and_b32_e32 v5, 0xffff0000, v28
	v_cmp_o_f32_e64 s[0:1], v6, v6
	v_cmp_o_f32_e64 s[10:11], v25, v25
	v_cndmask_b32_e32 v25, v10, v27, vcc
	v_mul_f32_e32 v4, v9, v4
	v_add3_u32 v35, v22, v35, s26
	v_add3_u32 v36, v23, v36, s26
	;; [unrolled: 1-line block ×3, first 2 shown]
	v_and_b32_e32 v6, 0xffff0000, v29
	v_cmp_o_f32_e64 s[2:3], v7, v7
	v_cndmask_b32_e64 v5, v10, v5, s[0:1]
	v_mul_f32_e32 v25, v9, v25
	v_min_f32_e32 v4, 0x43600000, v4
	v_and_b32_e32 v7, 0xffff0000, v35
	v_cmp_o_f32_e64 s[4:5], v22, v22
	v_and_b32_e32 v22, 0xffff0000, v36
	v_cmp_o_f32_e64 s[6:7], v23, v23
	;; [unrolled: 2-line block ×3, first 2 shown]
	v_and_b32_e32 v24, 0xffff0000, v38
	v_cndmask_b32_e64 v6, v10, v6, s[2:3]
	v_mul_f32_e32 v5, v9, v5
	v_min_f32_e32 v25, 0x43600000, v25
	v_max_f32_e32 v4, 0xc3600000, v4
	v_cndmask_b32_e64 v7, v10, v7, s[4:5]
	v_cndmask_b32_e64 v22, v10, v22, s[6:7]
	;; [unrolled: 1-line block ×4, first 2 shown]
	v_mul_f32_e32 v6, v9, v6
	v_min_f32_e32 v5, 0x43600000, v5
	v_max_f32_e32 v25, 0xc3600000, v25
	v_med3_f32 v26, v4, s28, v11
	v_cmp_nlg_f32_e64 s[12:13], |v4|, s27
	v_mul_f32_e32 v7, v9, v7
	v_mul_f32_e32 v22, v9, v22
	;; [unrolled: 1-line block ×4, first 2 shown]
	v_min_f32_e32 v6, 0x43600000, v6
	v_max_f32_e32 v5, 0xc3600000, v5
	v_med3_f32 v27, v25, s28, v11
	v_cmp_nlg_f32_e64 vcc, |v25|, s27
	v_cndmask_b32_e64 v4, v26, v4, s[12:13]
	v_min_f32_e32 v7, 0x43600000, v7
	v_min_f32_e32 v22, 0x43600000, v22
	;; [unrolled: 1-line block ×4, first 2 shown]
	v_max_f32_e32 v6, 0xc3600000, v6
	v_med3_f32 v28, v5, s28, v11
	v_cmp_nlg_f32_e64 s[0:1], |v5|, s27
	v_cndmask_b32_e32 v25, v27, v25, vcc
	v_cvt_pk_fp8_f32 v12, v4, v4
	v_max_f32_e32 v7, 0xc3600000, v7
	v_max_f32_e32 v22, 0xc3600000, v22
	;; [unrolled: 1-line block ×4, first 2 shown]
	v_med3_f32 v29, v6, s28, v11
	v_cmp_nlg_f32_e64 s[2:3], |v6|, s27
	v_cndmask_b32_e64 v5, v28, v5, s[0:1]
	v_cvt_pk_fp8_f32 v13, v25, v25
	v_med3_f32 v35, v7, s28, v11
	v_cmp_nlg_f32_e64 s[4:5], |v7|, s27
	v_med3_f32 v36, v22, s28, v11
	v_cmp_nlg_f32_e64 s[6:7], |v22|, s27
	;; [unrolled: 2-line block ×4, first 2 shown]
	v_cndmask_b32_e64 v6, v29, v6, s[2:3]
	v_cvt_pk_fp8_f32 v15, v5, v5
	v_cndmask_b32_e64 v7, v35, v7, s[4:5]
	v_cndmask_b32_e64 v22, v36, v22, s[6:7]
	;; [unrolled: 1-line block ×4, first 2 shown]
	v_cvt_pk_fp8_f32 v17, v6, v6
	v_cvt_pk_fp8_f32 v19, v7, v7
	v_cvt_pk_fp8_f32 v21, v22, v22
	v_cvt_pk_fp8_f32 v31, v23, v23
	v_cvt_pk_fp8_f32 v33, v24, v24
	global_store_byte v8, v12, s[20:21]
	global_store_byte v14, v13, s[20:21]
	;; [unrolled: 1-line block ×8, first 2 shown]
	v_add_u32_e32 v8, s24, v8
	s_andn2_b64 exec, exec, s[18:19]
	s_cbranch_execnz .LBB26_28
.LBB26_29:
	s_endpgm
	.section	.rodata,"a",@progbits
	.p2align	6, 0x0
	.amdhsa_kernel _ZN4vllm32rms_norm_static_fp8_quant_kernelIN3c108BFloat16ENS1_15Float8_e4m3fnuzELi8EEEvPT0_PKT_iS8_PKffii
		.amdhsa_group_segment_fixed_size 68
		.amdhsa_private_segment_fixed_size 0
		.amdhsa_kernarg_size 312
		.amdhsa_user_sgpr_count 2
		.amdhsa_user_sgpr_dispatch_ptr 0
		.amdhsa_user_sgpr_queue_ptr 0
		.amdhsa_user_sgpr_kernarg_segment_ptr 1
		.amdhsa_user_sgpr_dispatch_id 0
		.amdhsa_user_sgpr_kernarg_preload_length 0
		.amdhsa_user_sgpr_kernarg_preload_offset 0
		.amdhsa_user_sgpr_private_segment_size 0
		.amdhsa_uses_dynamic_stack 0
		.amdhsa_enable_private_segment 0
		.amdhsa_system_sgpr_workgroup_id_x 1
		.amdhsa_system_sgpr_workgroup_id_y 0
		.amdhsa_system_sgpr_workgroup_id_z 0
		.amdhsa_system_sgpr_workgroup_info 0
		.amdhsa_system_vgpr_workitem_id 0
		.amdhsa_next_free_vgpr 47
		.amdhsa_next_free_sgpr 29
		.amdhsa_accum_offset 48
		.amdhsa_reserve_vcc 1
		.amdhsa_float_round_mode_32 0
		.amdhsa_float_round_mode_16_64 0
		.amdhsa_float_denorm_mode_32 3
		.amdhsa_float_denorm_mode_16_64 3
		.amdhsa_dx10_clamp 1
		.amdhsa_ieee_mode 1
		.amdhsa_fp16_overflow 0
		.amdhsa_tg_split 0
		.amdhsa_exception_fp_ieee_invalid_op 0
		.amdhsa_exception_fp_denorm_src 0
		.amdhsa_exception_fp_ieee_div_zero 0
		.amdhsa_exception_fp_ieee_overflow 0
		.amdhsa_exception_fp_ieee_underflow 0
		.amdhsa_exception_fp_ieee_inexact 0
		.amdhsa_exception_int_div_zero 0
	.end_amdhsa_kernel
	.section	.text._ZN4vllm32rms_norm_static_fp8_quant_kernelIN3c108BFloat16ENS1_15Float8_e4m3fnuzELi8EEEvPT0_PKT_iS8_PKffii,"axG",@progbits,_ZN4vllm32rms_norm_static_fp8_quant_kernelIN3c108BFloat16ENS1_15Float8_e4m3fnuzELi8EEEvPT0_PKT_iS8_PKffii,comdat
.Lfunc_end26:
	.size	_ZN4vllm32rms_norm_static_fp8_quant_kernelIN3c108BFloat16ENS1_15Float8_e4m3fnuzELi8EEEvPT0_PKT_iS8_PKffii, .Lfunc_end26-_ZN4vllm32rms_norm_static_fp8_quant_kernelIN3c108BFloat16ENS1_15Float8_e4m3fnuzELi8EEEvPT0_PKT_iS8_PKffii
                                        ; -- End function
	.section	.AMDGPU.csdata,"",@progbits
; Kernel info:
; codeLenInByte = 3312
; NumSgprs: 35
; NumVgprs: 47
; NumAgprs: 0
; TotalNumVgprs: 47
; ScratchSize: 0
; MemoryBound: 0
; FloatMode: 240
; IeeeMode: 1
; LDSByteSize: 68 bytes/workgroup (compile time only)
; SGPRBlocks: 4
; VGPRBlocks: 5
; NumSGPRsForWavesPerEU: 35
; NumVGPRsForWavesPerEU: 47
; AccumOffset: 48
; Occupancy: 8
; WaveLimiterHint : 0
; COMPUTE_PGM_RSRC2:SCRATCH_EN: 0
; COMPUTE_PGM_RSRC2:USER_SGPR: 2
; COMPUTE_PGM_RSRC2:TRAP_HANDLER: 0
; COMPUTE_PGM_RSRC2:TGID_X_EN: 1
; COMPUTE_PGM_RSRC2:TGID_Y_EN: 0
; COMPUTE_PGM_RSRC2:TGID_Z_EN: 0
; COMPUTE_PGM_RSRC2:TIDIG_COMP_CNT: 0
; COMPUTE_PGM_RSRC3_GFX90A:ACCUM_OFFSET: 11
; COMPUTE_PGM_RSRC3_GFX90A:TG_SPLIT: 0
	.section	.text._ZN4vllm32rms_norm_static_fp8_quant_kernelIN3c108BFloat16ENS1_15Float8_e4m3fnuzELi4EEEvPT0_PKT_iS8_PKffii,"axG",@progbits,_ZN4vllm32rms_norm_static_fp8_quant_kernelIN3c108BFloat16ENS1_15Float8_e4m3fnuzELi4EEEvPT0_PKT_iS8_PKffii,comdat
	.protected	_ZN4vllm32rms_norm_static_fp8_quant_kernelIN3c108BFloat16ENS1_15Float8_e4m3fnuzELi4EEEvPT0_PKT_iS8_PKffii ; -- Begin function _ZN4vllm32rms_norm_static_fp8_quant_kernelIN3c108BFloat16ENS1_15Float8_e4m3fnuzELi4EEEvPT0_PKT_iS8_PKffii
	.globl	_ZN4vllm32rms_norm_static_fp8_quant_kernelIN3c108BFloat16ENS1_15Float8_e4m3fnuzELi4EEEvPT0_PKT_iS8_PKffii
	.p2align	8
	.type	_ZN4vllm32rms_norm_static_fp8_quant_kernelIN3c108BFloat16ENS1_15Float8_e4m3fnuzELi4EEEvPT0_PKT_iS8_PKffii,@function
_ZN4vllm32rms_norm_static_fp8_quant_kernelIN3c108BFloat16ENS1_15Float8_e4m3fnuzELi4EEEvPT0_PKT_iS8_PKffii: ; @_ZN4vllm32rms_norm_static_fp8_quant_kernelIN3c108BFloat16ENS1_15Float8_e4m3fnuzELi4EEEvPT0_PKT_iS8_PKffii
; %bb.0:
	s_load_dword s6, s[0:1], 0x10
	s_load_dwordx2 s[4:5], s[0:1], 0x8
	s_load_dword s3, s[0:1], 0x30
	s_load_dword s12, s[0:1], 0x44
	s_mov_b32 s11, 0
	s_waitcnt lgkmcnt(0)
	s_mul_i32 s10, s2, s6
	s_lshl_b64 s[6:7], s[10:11], 1
	s_add_u32 s8, s4, s6
	s_addc_u32 s9, s5, s7
	s_and_b32 s18, s12, 0xffff
	s_and_b32 s10, s8, 7
	s_cmp_lg_u64 s[10:11], 0
	s_cselect_b64 s[10:11], -1, 0
	s_and_b32 s12, s3, 3
	s_cmp_lg_u32 s12, 0
	s_cselect_b64 s[12:13], -1, 0
	s_or_b64 s[10:11], s[10:11], s[12:13]
	s_and_b64 vcc, exec, s[10:11]
	s_cbranch_vccz .LBB27_14
; %bb.1:
	s_sub_i32 s10, 0, s8
	s_bfe_u32 s10, s10, 0x20001
	s_min_i32 s10, s10, s3
	v_cmp_gt_i32_e32 vcc, s10, v0
	v_mov_b32_e32 v3, 0
	s_and_saveexec_b64 s[12:13], vcc
	s_cbranch_execz .LBB27_5
; %bb.2:
	s_add_u32 s16, s4, s6
	v_lshlrev_b32_e32 v2, 1, v0
	v_mov_b32_e32 v3, 0
	s_addc_u32 s17, s5, s7
	s_mov_b32 s15, 0
	v_lshl_add_u64 v[4:5], s[16:17], 0, v[2:3]
	s_lshl_b32 s14, s18, 1
	s_mov_b64 s[16:17], 0
	v_mov_b32_e32 v1, v0
.LBB27_3:                               ; =>This Inner Loop Header: Depth=1
	global_load_ushort v2, v[4:5], off
	v_add_u32_e32 v1, s18, v1
	v_cmp_le_i32_e32 vcc, s10, v1
	v_lshl_add_u64 v[4:5], v[4:5], 0, s[14:15]
	s_or_b64 s[16:17], vcc, s[16:17]
	s_waitcnt vmcnt(0)
	v_lshlrev_b32_e32 v2, 16, v2
	v_fmac_f32_e32 v3, v2, v2
	s_andn2_b64 exec, exec, s[16:17]
	s_cbranch_execnz .LBB27_3
; %bb.4:
	s_or_b64 exec, exec, s[16:17]
.LBB27_5:
	s_or_b64 exec, exec, s[12:13]
	s_sub_i32 s19, s3, s10
	s_ashr_i32 s12, s19, 31
	s_lshr_b32 s12, s12, 30
	s_add_i32 s12, s19, s12
	s_ashr_i32 s20, s12, 2
	s_ashr_i32 s11, s10, 31
	v_cmp_gt_i32_e32 vcc, s20, v0
	s_and_saveexec_b64 s[12:13], vcc
	s_cbranch_execz .LBB27_9
; %bb.6:
	s_lshl_b64 s[16:17], s[10:11], 1
	s_add_u32 s14, s4, s6
	s_addc_u32 s21, s5, s7
	s_add_u32 s16, s14, s16
	v_lshlrev_b32_e32 v4, 3, v0
	v_mov_b32_e32 v5, 0
	s_addc_u32 s17, s21, s17
	v_lshl_add_u64 v[4:5], s[16:17], 0, v[4:5]
	s_mov_b32 s15, 0
	v_lshl_add_u64 v[4:5], v[4:5], 0, 4
	s_lshl_b32 s14, s18, 3
	s_mov_b64 s[16:17], 0
	v_mov_b32_e32 v1, v0
.LBB27_7:                               ; =>This Inner Loop Header: Depth=1
	global_load_dwordx2 v[6:7], v[4:5], off offset:-4
	v_add_u32_e32 v1, s18, v1
	v_cmp_le_i32_e32 vcc, s20, v1
	v_lshl_add_u64 v[4:5], v[4:5], 0, s[14:15]
	s_or_b64 s[16:17], vcc, s[16:17]
	s_waitcnt vmcnt(0)
	v_and_b32_e32 v9, 0xffff0000, v6
	v_lshlrev_b32_e32 v8, 16, v6
	v_and_b32_e32 v11, 0xffff0000, v7
	v_lshlrev_b32_e32 v10, 16, v7
	v_pk_mul_f32 v[6:7], v[8:9], v[8:9]
	v_pk_mul_f32 v[8:9], v[10:11], v[10:11]
	v_add_f32_e32 v2, v3, v6
	v_add_f32_e32 v2, v2, v7
	;; [unrolled: 1-line block ×4, first 2 shown]
	s_andn2_b64 exec, exec, s[16:17]
	s_cbranch_execnz .LBB27_7
; %bb.8:
	s_or_b64 exec, exec, s[16:17]
.LBB27_9:
	s_or_b64 exec, exec, s[12:13]
	v_lshl_add_u32 v4, s20, 2, v0
	v_cmp_gt_i32_e32 vcc, s19, v4
	s_and_saveexec_b64 s[12:13], vcc
	s_cbranch_execz .LBB27_13
; %bb.10:
	s_lshl_b64 s[10:11], s[10:11], 1
	s_add_u32 s14, s4, s6
	s_addc_u32 s15, s5, s7
	s_add_u32 s10, s14, s10
	v_ashrrev_i32_e32 v5, 31, v4
	s_addc_u32 s11, s15, s11
	v_lshl_add_u64 v[6:7], v[4:5], 1, s[10:11]
	s_lshl_b32 s10, s18, 1
	s_mov_b32 s11, 0
	s_mov_b64 s[14:15], 0
.LBB27_11:                              ; =>This Inner Loop Header: Depth=1
	global_load_ushort v1, v[6:7], off
	v_add_u32_e32 v4, s18, v4
	v_cmp_le_i32_e32 vcc, s19, v4
	v_lshl_add_u64 v[6:7], v[6:7], 0, s[10:11]
	s_or_b64 s[14:15], vcc, s[14:15]
	s_waitcnt vmcnt(0)
	v_lshlrev_b32_e32 v1, 16, v1
	v_fmac_f32_e32 v3, v1, v1
	s_andn2_b64 exec, exec, s[14:15]
	s_cbranch_execnz .LBB27_11
; %bb.12:
	s_or_b64 exec, exec, s[14:15]
.LBB27_13:
	s_or_b64 exec, exec, s[12:13]
	s_branch .LBB27_20
.LBB27_14:
                                        ; implicit-def: $vgpr3
	s_cbranch_execz .LBB27_20
; %bb.15:
	s_ashr_i32 s14, s3, 2
	v_cmp_gt_i32_e32 vcc, s14, v0
	v_mov_b32_e32 v3, 0
	s_and_saveexec_b64 s[10:11], vcc
	s_cbranch_execz .LBB27_19
; %bb.16:
	s_add_u32 s4, s4, s6
	v_lshlrev_b32_e32 v2, 3, v0
	v_mov_b32_e32 v3, 0
	s_addc_u32 s5, s5, s7
	s_mov_b32 s13, 0
	v_lshl_add_u64 v[4:5], s[4:5], 0, v[2:3]
	s_lshl_b32 s12, s18, 3
	s_mov_b64 s[4:5], 0
	v_mov_b32_e32 v1, v0
.LBB27_17:                              ; =>This Inner Loop Header: Depth=1
	global_load_dwordx2 v[6:7], v[4:5], off
	v_add_u32_e32 v1, s18, v1
	v_cmp_le_i32_e32 vcc, s14, v1
	v_lshl_add_u64 v[4:5], v[4:5], 0, s[12:13]
	s_or_b64 s[4:5], vcc, s[4:5]
	s_waitcnt vmcnt(0)
	v_lshlrev_b32_e32 v8, 16, v6
	v_and_b32_e32 v2, 0xffff0000, v6
	v_alignbit_b32 v6, v7, v6, 16
	v_fmac_f32_e32 v3, v8, v8
	v_and_b32_e32 v6, 0xffff0000, v6
	v_fmac_f32_e32 v3, v2, v2
	v_and_b32_e32 v7, 0xffff0000, v7
	v_fmac_f32_e32 v3, v6, v6
	v_fmac_f32_e32 v3, v7, v7
	s_andn2_b64 exec, exec, s[4:5]
	s_cbranch_execnz .LBB27_17
; %bb.18:
	s_or_b64 exec, exec, s[4:5]
.LBB27_19:
	s_or_b64 exec, exec, s[10:11]
.LBB27_20:
	v_mbcnt_lo_u32_b32 v1, -1, 0
	v_mbcnt_hi_u32_b32 v1, -1, v1
	v_and_b32_e32 v2, 63, v1
	v_cmp_ne_u32_e32 vcc, 63, v2
	v_and_b32_e32 v5, 0x3c0, v0
	v_sub_u32_e64 v5, s18, v5 clamp
	v_addc_co_u32_e32 v4, vcc, 0, v1, vcc
	v_lshlrev_b32_e32 v4, 2, v4
	ds_bpermute_b32 v4, v4, v3
	v_add_u32_e32 v6, 1, v1
	v_cmp_lt_u32_e32 vcc, v6, v5
	v_add_u32_e32 v6, 2, v1
	s_waitcnt lgkmcnt(0)
	v_add_f32_e32 v4, v3, v4
	v_cndmask_b32_e32 v3, v3, v4, vcc
	v_cmp_gt_u32_e32 vcc, 62, v2
	s_nop 1
	v_cndmask_b32_e64 v4, 0, 1, vcc
	v_lshlrev_b32_e32 v4, 1, v4
	v_add_lshl_u32 v4, v4, v1, 2
	ds_bpermute_b32 v4, v4, v3
	v_cmp_lt_u32_e32 vcc, v6, v5
	v_add_u32_e32 v6, 4, v1
	s_waitcnt lgkmcnt(0)
	v_add_f32_e32 v4, v3, v4
	v_cndmask_b32_e32 v3, v3, v4, vcc
	v_cmp_gt_u32_e32 vcc, 60, v2
	s_nop 1
	v_cndmask_b32_e64 v4, 0, 1, vcc
	v_lshlrev_b32_e32 v4, 2, v4
	v_add_lshl_u32 v4, v4, v1, 2
	ds_bpermute_b32 v4, v4, v3
	;; [unrolled: 11-line block ×4, first 2 shown]
	v_cmp_lt_u32_e32 vcc, v6, v5
	s_waitcnt lgkmcnt(0)
	v_add_f32_e32 v4, v3, v4
	v_cndmask_b32_e32 v3, v3, v4, vcc
	v_cmp_gt_u32_e32 vcc, 32, v2
	v_add_u32_e32 v4, 32, v1
	s_nop 0
	v_cndmask_b32_e64 v2, 0, 1, vcc
	v_lshlrev_b32_e32 v2, 5, v2
	v_add_lshl_u32 v2, v2, v1, 2
	ds_bpermute_b32 v2, v2, v3
	v_cmp_lt_u32_e32 vcc, v4, v5
	s_waitcnt lgkmcnt(0)
	v_add_f32_e32 v2, v3, v2
	v_cndmask_b32_e32 v2, v3, v2, vcc
	v_cmp_eq_u32_e32 vcc, 0, v1
	s_and_saveexec_b64 s[4:5], vcc
	s_cbranch_execz .LBB27_22
; %bb.21:
	v_lshrrev_b32_e32 v3, 4, v0
	v_and_b32_e32 v3, 60, v3
	ds_write_b32 v3, v2
.LBB27_22:
	s_or_b64 exec, exec, s[4:5]
	v_cmp_gt_u32_e32 vcc, 16, v0
	s_waitcnt lgkmcnt(0)
	s_barrier
	s_and_saveexec_b64 s[6:7], vcc
	s_cbranch_execz .LBB27_24
; %bb.23:
	v_lshlrev_b32_e32 v2, 2, v1
	ds_read_b32 v2, v2
	v_and_b32_e32 v3, 15, v1
	v_cmp_ne_u32_e32 vcc, 15, v3
	s_add_i32 s4, s18, 63
	s_lshr_b32 s10, s4, 6
	v_addc_co_u32_e32 v4, vcc, 0, v1, vcc
	v_lshlrev_b32_e32 v4, 2, v4
	s_waitcnt lgkmcnt(0)
	ds_bpermute_b32 v4, v4, v2
	v_add_u32_e32 v5, 1, v3
	v_cmp_gt_u32_e64 s[4:5], 14, v3
	v_cmp_gt_u32_e32 vcc, s10, v5
	v_add_u32_e32 v6, 2, v3
	v_cndmask_b32_e64 v5, 0, 1, s[4:5]
	s_waitcnt lgkmcnt(0)
	v_add_f32_e32 v4, v2, v4
	v_lshlrev_b32_e32 v5, 1, v5
	v_cndmask_b32_e32 v4, v2, v4, vcc
	v_add_lshl_u32 v5, v5, v1, 2
	ds_bpermute_b32 v5, v5, v4
	v_cmp_gt_u32_e64 s[4:5], s10, v6
	v_add_u32_e32 v6, 4, v3
	s_waitcnt lgkmcnt(0)
	v_add_f32_e32 v5, v4, v5
	v_cndmask_b32_e64 v4, v4, v5, s[4:5]
	v_cmp_gt_u32_e64 s[4:5], 12, v3
	s_nop 1
	v_cndmask_b32_e64 v5, 0, 1, s[4:5]
	v_lshlrev_b32_e32 v5, 2, v5
	v_add_lshl_u32 v5, v5, v1, 2
	ds_bpermute_b32 v5, v5, v4
	v_cmp_gt_u32_e64 s[4:5], s10, v6
	s_waitcnt lgkmcnt(0)
	v_add_f32_e32 v5, v4, v5
	v_cndmask_b32_e64 v4, v4, v5, s[4:5]
	v_cmp_gt_u32_e64 s[4:5], 8, v3
	v_add_u32_e32 v3, 8, v3
	s_nop 0
	v_cndmask_b32_e64 v5, 0, 1, s[4:5]
	v_lshlrev_b32_e32 v5, 3, v5
	v_add_lshl_u32 v1, v5, v1, 2
	ds_bpermute_b32 v1, v1, v4
	v_cmp_gt_u32_e64 s[4:5], s10, v3
	s_waitcnt lgkmcnt(0)
	v_add_f32_e32 v1, v4, v1
	v_cndmask_b32_e64 v1, v4, v1, s[4:5]
	v_cndmask_b32_e32 v2, v2, v1, vcc
.LBB27_24:
	s_or_b64 exec, exec, s[6:7]
	v_cmp_eq_u32_e32 vcc, 0, v0
	s_and_saveexec_b64 s[4:5], vcc
	s_cbranch_execz .LBB27_26
; %bb.25:
	v_cvt_f32_i32_e32 v1, s3
	s_load_dword s10, s[0:1], 0x28
	v_div_scale_f32 v3, s[6:7], v1, v1, v2
	v_rcp_f32_e32 v4, v3
	v_div_scale_f32 v5, vcc, v2, v1, v2
	s_mov_b32 s6, 0x800000
	v_fma_f32 v6, -v3, v4, 1.0
	v_fmac_f32_e32 v4, v6, v4
	v_mul_f32_e32 v6, v5, v4
	v_fma_f32 v7, -v3, v6, v5
	v_fmac_f32_e32 v6, v7, v4
	v_fma_f32 v3, -v3, v6, v5
	v_div_fmas_f32 v3, v3, v4, v6
	v_div_fixup_f32 v1, v3, v1, v2
	s_waitcnt lgkmcnt(0)
	v_add_f32_e32 v1, s10, v1
	v_mul_f32_e32 v2, 0x4b800000, v1
	v_cmp_gt_f32_e32 vcc, s6, v1
	s_nop 1
	v_cndmask_b32_e32 v1, v1, v2, vcc
	v_rsq_f32_e32 v1, v1
	s_nop 0
	v_mul_f32_e32 v2, 0x45800000, v1
	v_cndmask_b32_e32 v1, v1, v2, vcc
	v_mov_b32_e32 v2, 0
	ds_write_b32 v2, v1 offset:64
.LBB27_26:
	s_or_b64 exec, exec, s[4:5]
	s_ashr_i32 s4, s3, 31
	s_lshr_b32 s4, s4, 30
	s_add_i32 s4, s3, s4
	s_ashr_i32 s14, s4, 2
	v_cmp_gt_i32_e32 vcc, s14, v0
	s_waitcnt lgkmcnt(0)
	s_barrier
	s_and_saveexec_b64 s[4:5], vcc
	s_cbranch_execz .LBB27_29
; %bb.27:
	s_load_dwordx4 s[4:7], s[0:1], 0x18
	s_load_dwordx2 s[10:11], s[0:1], 0x0
	s_mul_i32 s2, s2, s3
	v_mov_b32_e32 v3, 0
	ds_read_b32 v1, v3 offset:64
	s_waitcnt lgkmcnt(0)
	s_load_dword s3, s[6:7], 0x0
	s_lshl_b32 s15, s18, 2
	v_lshlrev_b32_e32 v2, 3, v0
	v_lshl_add_u32 v4, v0, 2, s2
	s_mov_b32 s7, 0
	s_waitcnt lgkmcnt(0)
	v_div_scale_f32 v5, s[0:1], s3, s3, 1.0
	v_rcp_f32_e32 v6, v5
	v_div_scale_f32 v7, vcc, 1.0, s3, 1.0
	s_lshl_b32 s6, s18, 3
	v_fma_f32 v8, -v5, v6, 1.0
	v_fmac_f32_e32 v6, v8, v6
	v_mul_f32_e32 v8, v7, v6
	v_fma_f32 v9, -v5, v8, v7
	v_fmac_f32_e32 v8, v9, v6
	v_fma_f32 v5, -v5, v8, v7
	v_div_fmas_f32 v5, v5, v6, v8
	v_div_fixup_f32 v5, v5, s3, 1.0
	s_mov_b64 s[12:13], 0
	s_movk_i32 s16, 0x7fff
	v_mov_b32_e32 v6, 0x7fc00000
	s_mov_b32 s17, 0x7f800000
	s_mov_b32 s19, 0x43700000
	v_mov_b32_e32 v7, 0xc3700000
.LBB27_28:                              ; =>This Inner Loop Header: Depth=1
	v_lshl_add_u64 v[8:9], s[8:9], 0, v[2:3]
	v_lshl_add_u64 v[10:11], s[4:5], 0, v[2:3]
	global_load_dwordx2 v[12:13], v[8:9], off
	global_load_dwordx2 v[14:15], v[10:11], off
	v_add_u32_e32 v0, s18, v0
	v_cmp_le_i32_e32 vcc, s14, v0
	s_or_b64 s[12:13], vcc, s[12:13]
	v_mov_b32_e32 v16, 0
	v_mov_b32_e32 v17, 0
	;; [unrolled: 1-line block ×4, first 2 shown]
	v_add_u32_e32 v18, 1, v4
	v_add_u32_e32 v20, 2, v4
	v_add_u32_e32 v8, 3, v4
	v_lshl_add_u64 v[2:3], v[2:3], 0, s[6:7]
	s_waitcnt vmcnt(1)
	v_and_b32_e32 v9, 0xffff0000, v12
	v_lshlrev_b32_e32 v11, 16, v12
	v_alignbit_b32 v12, v13, v12, 16
	v_and_b32_e32 v13, 0xffff0000, v13
	v_mul_f32_e32 v11, v1, v11
	v_mul_f32_e32 v9, v1, v9
	v_and_b32_e32 v12, 0xffff0000, v12
	v_mul_f32_e32 v13, v1, v13
	v_bfe_u32 v23, v11, 16, 1
	v_bfe_u32 v24, v9, 16, 1
	v_mul_f32_e32 v12, v1, v12
	v_bfe_u32 v25, v13, 16, 1
	v_add3_u32 v23, v11, v23, s16
	v_add3_u32 v24, v9, v24, s16
	v_bfe_u32 v26, v12, 16, 1
	v_add3_u32 v25, v13, v25, s16
	v_and_b32_e32 v23, 0xffff0000, v23
	v_and_b32_e32 v24, 0xffff0000, v24
	v_cmp_o_f32_e32 vcc, v9, v9
	v_add3_u32 v9, v12, v26, s16
	v_cmp_o_f32_e64 s[2:3], v11, v11
	s_waitcnt vmcnt(0)
	v_and_b32_e32 v10, 0xffff0000, v14
	v_lshlrev_b32_e32 v22, 16, v14
	v_alignbit_b32 v14, v15, v14, 16
	v_and_b32_e32 v25, 0xffff0000, v25
	v_cmp_o_f32_e64 s[0:1], v13, v13
	v_cndmask_b32_e64 v11, v6, v23, s[2:3]
	v_cndmask_b32_e32 v13, v6, v24, vcc
	v_and_b32_e32 v9, 0xffff0000, v9
	v_cmp_o_f32_e32 vcc, v12, v12
	v_and_b32_e32 v15, 0xffff0000, v15
	v_and_b32_e32 v14, 0xffff0000, v14
	v_cndmask_b32_e64 v23, v6, v25, s[0:1]
	v_mul_f32_e32 v11, v11, v22
	v_mul_f32_e32 v10, v13, v10
	v_cndmask_b32_e32 v9, v6, v9, vcc
	v_mul_f32_e32 v12, v23, v15
	v_bfe_u32 v13, v11, 16, 1
	v_bfe_u32 v15, v10, 16, 1
	v_mul_f32_e32 v9, v9, v14
	v_add3_u32 v13, v11, v13, s16
	v_add3_u32 v15, v10, v15, s16
	v_bfe_u32 v22, v9, 16, 1
	v_bfe_u32 v14, v12, 16, 1
	v_and_b32_e32 v13, 0xffff0000, v13
	v_and_b32_e32 v15, 0xffff0000, v15
	v_cmp_o_f32_e32 vcc, v10, v10
	v_add3_u32 v10, v9, v22, s16
	v_cmp_o_f32_e64 s[2:3], v11, v11
	v_add3_u32 v14, v12, v14, s16
	v_cmp_o_f32_e64 s[0:1], v12, v12
	v_cndmask_b32_e64 v11, v6, v13, s[2:3]
	v_cndmask_b32_e32 v12, v6, v15, vcc
	v_and_b32_e32 v10, 0xffff0000, v10
	v_cmp_o_f32_e32 vcc, v9, v9
	v_and_b32_e32 v14, 0xffff0000, v14
	v_mul_f32_e32 v9, v5, v11
	v_mul_f32_e32 v11, v5, v12
	v_cndmask_b32_e32 v10, v6, v10, vcc
	v_cndmask_b32_e64 v13, v6, v14, s[0:1]
	v_min_f32_e32 v9, 0x43600000, v9
	v_min_f32_e32 v11, 0x43600000, v11
	v_mul_f32_e32 v10, v5, v10
	v_mul_f32_e32 v12, v5, v13
	v_max_f32_e32 v9, 0xc3600000, v9
	v_max_f32_e32 v11, 0xc3600000, v11
	v_min_f32_e32 v10, 0x43600000, v10
	v_min_f32_e32 v12, 0x43600000, v12
	v_med3_f32 v13, v9, s19, v7
	v_med3_f32 v14, v11, s19, v7
	v_cmp_nlg_f32_e64 vcc, |v11|, s17
	v_max_f32_e32 v10, 0xc3600000, v10
	v_cmp_nlg_f32_e64 s[2:3], |v9|, s17
	v_max_f32_e32 v12, 0xc3600000, v12
	v_cndmask_b32_e32 v11, v14, v11, vcc
	v_cndmask_b32_e64 v9, v13, v9, s[2:3]
	v_med3_f32 v13, v10, s19, v7
	v_cmp_nlg_f32_e64 vcc, |v10|, s17
	v_med3_f32 v15, v12, s19, v7
	v_cmp_nlg_f32_e64 s[0:1], |v12|, s17
	v_cvt_pk_fp8_f32 v16, v9, v9
	v_cndmask_b32_e32 v9, v13, v10, vcc
	v_cndmask_b32_e64 v12, v15, v12, s[0:1]
	v_cvt_pk_fp8_f32 v17, v11, v11
	v_cvt_pk_fp8_f32 v19, v9, v9
	;; [unrolled: 1-line block ×3, first 2 shown]
	global_store_byte v4, v16, s[10:11]
	global_store_byte v18, v17, s[10:11]
	;; [unrolled: 1-line block ×3, first 2 shown]
	v_add_u32_e32 v4, s15, v4
	global_store_byte v20, v19, s[10:11]
	s_andn2_b64 exec, exec, s[12:13]
	s_cbranch_execnz .LBB27_28
.LBB27_29:
	s_endpgm
	.section	.rodata,"a",@progbits
	.p2align	6, 0x0
	.amdhsa_kernel _ZN4vllm32rms_norm_static_fp8_quant_kernelIN3c108BFloat16ENS1_15Float8_e4m3fnuzELi4EEEvPT0_PKT_iS8_PKffii
		.amdhsa_group_segment_fixed_size 68
		.amdhsa_private_segment_fixed_size 0
		.amdhsa_kernarg_size 312
		.amdhsa_user_sgpr_count 2
		.amdhsa_user_sgpr_dispatch_ptr 0
		.amdhsa_user_sgpr_queue_ptr 0
		.amdhsa_user_sgpr_kernarg_segment_ptr 1
		.amdhsa_user_sgpr_dispatch_id 0
		.amdhsa_user_sgpr_kernarg_preload_length 0
		.amdhsa_user_sgpr_kernarg_preload_offset 0
		.amdhsa_user_sgpr_private_segment_size 0
		.amdhsa_uses_dynamic_stack 0
		.amdhsa_enable_private_segment 0
		.amdhsa_system_sgpr_workgroup_id_x 1
		.amdhsa_system_sgpr_workgroup_id_y 0
		.amdhsa_system_sgpr_workgroup_id_z 0
		.amdhsa_system_sgpr_workgroup_info 0
		.amdhsa_system_vgpr_workitem_id 0
		.amdhsa_next_free_vgpr 27
		.amdhsa_next_free_sgpr 22
		.amdhsa_accum_offset 28
		.amdhsa_reserve_vcc 1
		.amdhsa_float_round_mode_32 0
		.amdhsa_float_round_mode_16_64 0
		.amdhsa_float_denorm_mode_32 3
		.amdhsa_float_denorm_mode_16_64 3
		.amdhsa_dx10_clamp 1
		.amdhsa_ieee_mode 1
		.amdhsa_fp16_overflow 0
		.amdhsa_tg_split 0
		.amdhsa_exception_fp_ieee_invalid_op 0
		.amdhsa_exception_fp_denorm_src 0
		.amdhsa_exception_fp_ieee_div_zero 0
		.amdhsa_exception_fp_ieee_overflow 0
		.amdhsa_exception_fp_ieee_underflow 0
		.amdhsa_exception_fp_ieee_inexact 0
		.amdhsa_exception_int_div_zero 0
	.end_amdhsa_kernel
	.section	.text._ZN4vllm32rms_norm_static_fp8_quant_kernelIN3c108BFloat16ENS1_15Float8_e4m3fnuzELi4EEEvPT0_PKT_iS8_PKffii,"axG",@progbits,_ZN4vllm32rms_norm_static_fp8_quant_kernelIN3c108BFloat16ENS1_15Float8_e4m3fnuzELi4EEEvPT0_PKT_iS8_PKffii,comdat
.Lfunc_end27:
	.size	_ZN4vllm32rms_norm_static_fp8_quant_kernelIN3c108BFloat16ENS1_15Float8_e4m3fnuzELi4EEEvPT0_PKT_iS8_PKffii, .Lfunc_end27-_ZN4vllm32rms_norm_static_fp8_quant_kernelIN3c108BFloat16ENS1_15Float8_e4m3fnuzELi4EEEvPT0_PKT_iS8_PKffii
                                        ; -- End function
	.section	.AMDGPU.csdata,"",@progbits
; Kernel info:
; codeLenInByte = 2516
; NumSgprs: 28
; NumVgprs: 27
; NumAgprs: 0
; TotalNumVgprs: 27
; ScratchSize: 0
; MemoryBound: 0
; FloatMode: 240
; IeeeMode: 1
; LDSByteSize: 68 bytes/workgroup (compile time only)
; SGPRBlocks: 3
; VGPRBlocks: 3
; NumSGPRsForWavesPerEU: 28
; NumVGPRsForWavesPerEU: 27
; AccumOffset: 28
; Occupancy: 8
; WaveLimiterHint : 0
; COMPUTE_PGM_RSRC2:SCRATCH_EN: 0
; COMPUTE_PGM_RSRC2:USER_SGPR: 2
; COMPUTE_PGM_RSRC2:TRAP_HANDLER: 0
; COMPUTE_PGM_RSRC2:TGID_X_EN: 1
; COMPUTE_PGM_RSRC2:TGID_Y_EN: 0
; COMPUTE_PGM_RSRC2:TGID_Z_EN: 0
; COMPUTE_PGM_RSRC2:TIDIG_COMP_CNT: 0
; COMPUTE_PGM_RSRC3_GFX90A:ACCUM_OFFSET: 6
; COMPUTE_PGM_RSRC3_GFX90A:TG_SPLIT: 0
	.section	.text._ZN4vllm32rms_norm_static_fp8_quant_kernelIN3c108BFloat16ENS1_15Float8_e4m3fnuzELi2EEEvPT0_PKT_iS8_PKffii,"axG",@progbits,_ZN4vllm32rms_norm_static_fp8_quant_kernelIN3c108BFloat16ENS1_15Float8_e4m3fnuzELi2EEEvPT0_PKT_iS8_PKffii,comdat
	.protected	_ZN4vllm32rms_norm_static_fp8_quant_kernelIN3c108BFloat16ENS1_15Float8_e4m3fnuzELi2EEEvPT0_PKT_iS8_PKffii ; -- Begin function _ZN4vllm32rms_norm_static_fp8_quant_kernelIN3c108BFloat16ENS1_15Float8_e4m3fnuzELi2EEEvPT0_PKT_iS8_PKffii
	.globl	_ZN4vllm32rms_norm_static_fp8_quant_kernelIN3c108BFloat16ENS1_15Float8_e4m3fnuzELi2EEEvPT0_PKT_iS8_PKffii
	.p2align	8
	.type	_ZN4vllm32rms_norm_static_fp8_quant_kernelIN3c108BFloat16ENS1_15Float8_e4m3fnuzELi2EEEvPT0_PKT_iS8_PKffii,@function
_ZN4vllm32rms_norm_static_fp8_quant_kernelIN3c108BFloat16ENS1_15Float8_e4m3fnuzELi2EEEvPT0_PKT_iS8_PKffii: ; @_ZN4vllm32rms_norm_static_fp8_quant_kernelIN3c108BFloat16ENS1_15Float8_e4m3fnuzELi2EEEvPT0_PKT_iS8_PKffii
; %bb.0:
	s_load_dword s6, s[0:1], 0x10
	s_load_dwordx2 s[4:5], s[0:1], 0x8
	s_load_dword s3, s[0:1], 0x30
	s_load_dword s12, s[0:1], 0x44
	s_mov_b32 s11, 0
	s_waitcnt lgkmcnt(0)
	s_mul_i32 s10, s2, s6
	s_lshl_b64 s[6:7], s[10:11], 1
	s_add_u32 s8, s4, s6
	s_addc_u32 s9, s5, s7
	s_and_b32 s18, s12, 0xffff
	s_and_b32 s10, s8, 3
	s_cmp_lg_u64 s[10:11], 0
	s_cselect_b64 s[10:11], -1, 0
	s_bitcmp1_b32 s3, 0
	s_cselect_b64 s[12:13], -1, 0
	s_or_b64 s[10:11], s[10:11], s[12:13]
	s_and_b64 vcc, exec, s[10:11]
	s_cbranch_vccz .LBB28_13
; %bb.1:
	s_sub_i32 s10, 0, s8
	s_bfe_u32 s10, s10, 0x10001
	s_min_i32 s10, s10, s3
	v_cmp_gt_i32_e32 vcc, s10, v0
	v_mov_b32_e32 v3, 0
	s_and_saveexec_b64 s[12:13], vcc
	s_cbranch_execz .LBB28_4
; %bb.2:
	s_lshl_b32 s11, s18, 1
	s_mov_b32 s16, 0
	v_mov_b32_e32 v1, 0
	s_mov_b64 s[14:15], s[8:9]
	v_mov_b32_e32 v3, 0
.LBB28_3:                               ; =>This Inner Loop Header: Depth=1
	global_load_ushort v2, v1, s[14:15]
	s_add_i32 s16, s16, s18
	s_add_u32 s14, s14, s11
	s_addc_u32 s15, s15, 0
	s_cmp_ge_i32 s16, s10
	s_waitcnt vmcnt(0)
	v_lshlrev_b32_e32 v2, 16, v2
	v_fmac_f32_e32 v3, v2, v2
	s_cbranch_scc0 .LBB28_3
.LBB28_4:
	s_or_b64 exec, exec, s[12:13]
	s_sub_i32 s19, s3, s10
	s_lshr_b32 s12, s19, 31
	s_add_i32 s12, s19, s12
	s_ashr_i32 s20, s12, 1
	s_ashr_i32 s11, s10, 31
	v_cmp_gt_i32_e32 vcc, s20, v0
	s_and_saveexec_b64 s[12:13], vcc
	s_cbranch_execz .LBB28_8
; %bb.5:
	s_lshl_b64 s[16:17], s[10:11], 1
	s_add_u32 s14, s4, s6
	s_addc_u32 s21, s5, s7
	s_add_u32 s16, s14, s16
	v_lshlrev_b32_e32 v4, 2, v0
	v_mov_b32_e32 v5, 0
	s_addc_u32 s17, s21, s17
	s_mov_b32 s15, 0
	v_lshl_add_u64 v[4:5], s[16:17], 0, v[4:5]
	s_lshl_b32 s14, s18, 2
	s_mov_b64 s[16:17], 0
	v_mov_b32_e32 v1, v0
.LBB28_6:                               ; =>This Inner Loop Header: Depth=1
	global_load_dword v2, v[4:5], off
	v_add_u32_e32 v1, s18, v1
	v_cmp_le_i32_e32 vcc, s20, v1
	v_lshl_add_u64 v[4:5], v[4:5], 0, s[14:15]
	s_or_b64 s[16:17], vcc, s[16:17]
	s_waitcnt vmcnt(0)
	v_and_b32_e32 v7, 0xffff0000, v2
	v_lshlrev_b32_e32 v6, 16, v2
	v_pk_mul_f32 v[6:7], v[6:7], v[6:7]
	s_nop 0
	v_add_f32_e32 v2, v3, v6
	v_add_f32_e32 v3, v2, v7
	s_andn2_b64 exec, exec, s[16:17]
	s_cbranch_execnz .LBB28_6
; %bb.7:
	s_or_b64 exec, exec, s[16:17]
.LBB28_8:
	s_or_b64 exec, exec, s[12:13]
	v_lshl_add_u32 v4, s20, 1, v0
	v_cmp_gt_i32_e32 vcc, s19, v4
	s_and_saveexec_b64 s[12:13], vcc
	s_cbranch_execz .LBB28_12
; %bb.9:
	s_lshl_b64 s[10:11], s[10:11], 1
	s_add_u32 s14, s4, s6
	s_addc_u32 s15, s5, s7
	s_add_u32 s10, s14, s10
	v_ashrrev_i32_e32 v5, 31, v4
	s_addc_u32 s11, s15, s11
	v_lshl_add_u64 v[6:7], v[4:5], 1, s[10:11]
	s_lshl_b32 s10, s18, 1
	s_mov_b32 s11, 0
	s_mov_b64 s[14:15], 0
.LBB28_10:                              ; =>This Inner Loop Header: Depth=1
	global_load_ushort v1, v[6:7], off
	v_add_u32_e32 v4, s18, v4
	v_cmp_le_i32_e32 vcc, s19, v4
	v_lshl_add_u64 v[6:7], v[6:7], 0, s[10:11]
	s_or_b64 s[14:15], vcc, s[14:15]
	s_waitcnt vmcnt(0)
	v_lshlrev_b32_e32 v1, 16, v1
	v_fmac_f32_e32 v3, v1, v1
	s_andn2_b64 exec, exec, s[14:15]
	s_cbranch_execnz .LBB28_10
; %bb.11:
	s_or_b64 exec, exec, s[14:15]
.LBB28_12:
	s_or_b64 exec, exec, s[12:13]
	s_branch .LBB28_19
.LBB28_13:
                                        ; implicit-def: $vgpr3
	s_cbranch_execz .LBB28_19
; %bb.14:
	s_ashr_i32 s14, s3, 1
	v_cmp_gt_i32_e32 vcc, s14, v0
	v_mov_b32_e32 v3, 0
	s_and_saveexec_b64 s[10:11], vcc
	s_cbranch_execz .LBB28_18
; %bb.15:
	s_add_u32 s4, s4, s6
	v_lshlrev_b32_e32 v2, 2, v0
	v_mov_b32_e32 v3, 0
	s_addc_u32 s5, s5, s7
	s_mov_b32 s13, 0
	v_lshl_add_u64 v[4:5], s[4:5], 0, v[2:3]
	s_lshl_b32 s12, s18, 2
	s_mov_b64 s[4:5], 0
	v_mov_b32_e32 v1, v0
.LBB28_16:                              ; =>This Inner Loop Header: Depth=1
	global_load_dword v2, v[4:5], off
	v_add_u32_e32 v1, s18, v1
	v_cmp_le_i32_e32 vcc, s14, v1
	v_lshl_add_u64 v[4:5], v[4:5], 0, s[12:13]
	s_or_b64 s[4:5], vcc, s[4:5]
	s_waitcnt vmcnt(0)
	v_and_b32_e32 v6, 0xffff0000, v2
	v_lshlrev_b32_e32 v7, 16, v2
	v_pk_mul_f32 v[6:7], v[6:7], v[6:7]
	s_nop 0
	v_add_f32_e32 v2, v3, v7
	v_add_f32_e32 v3, v6, v2
	s_andn2_b64 exec, exec, s[4:5]
	s_cbranch_execnz .LBB28_16
; %bb.17:
	s_or_b64 exec, exec, s[4:5]
.LBB28_18:
	s_or_b64 exec, exec, s[10:11]
.LBB28_19:
	v_mbcnt_lo_u32_b32 v1, -1, 0
	v_mbcnt_hi_u32_b32 v1, -1, v1
	v_and_b32_e32 v2, 63, v1
	v_cmp_ne_u32_e32 vcc, 63, v2
	v_and_b32_e32 v5, 0x3c0, v0
	v_sub_u32_e64 v5, s18, v5 clamp
	v_addc_co_u32_e32 v4, vcc, 0, v1, vcc
	v_lshlrev_b32_e32 v4, 2, v4
	ds_bpermute_b32 v4, v4, v3
	v_add_u32_e32 v6, 1, v1
	v_cmp_lt_u32_e32 vcc, v6, v5
	v_add_u32_e32 v6, 2, v1
	s_waitcnt lgkmcnt(0)
	v_add_f32_e32 v4, v3, v4
	v_cndmask_b32_e32 v3, v3, v4, vcc
	v_cmp_gt_u32_e32 vcc, 62, v2
	s_nop 1
	v_cndmask_b32_e64 v4, 0, 1, vcc
	v_lshlrev_b32_e32 v4, 1, v4
	v_add_lshl_u32 v4, v4, v1, 2
	ds_bpermute_b32 v4, v4, v3
	v_cmp_lt_u32_e32 vcc, v6, v5
	v_add_u32_e32 v6, 4, v1
	s_waitcnt lgkmcnt(0)
	v_add_f32_e32 v4, v3, v4
	v_cndmask_b32_e32 v3, v3, v4, vcc
	v_cmp_gt_u32_e32 vcc, 60, v2
	s_nop 1
	v_cndmask_b32_e64 v4, 0, 1, vcc
	v_lshlrev_b32_e32 v4, 2, v4
	v_add_lshl_u32 v4, v4, v1, 2
	ds_bpermute_b32 v4, v4, v3
	;; [unrolled: 11-line block ×4, first 2 shown]
	v_cmp_lt_u32_e32 vcc, v6, v5
	s_waitcnt lgkmcnt(0)
	v_add_f32_e32 v4, v3, v4
	v_cndmask_b32_e32 v3, v3, v4, vcc
	v_cmp_gt_u32_e32 vcc, 32, v2
	v_add_u32_e32 v4, 32, v1
	s_nop 0
	v_cndmask_b32_e64 v2, 0, 1, vcc
	v_lshlrev_b32_e32 v2, 5, v2
	v_add_lshl_u32 v2, v2, v1, 2
	ds_bpermute_b32 v2, v2, v3
	v_cmp_lt_u32_e32 vcc, v4, v5
	s_waitcnt lgkmcnt(0)
	v_add_f32_e32 v2, v3, v2
	v_cndmask_b32_e32 v2, v3, v2, vcc
	v_cmp_eq_u32_e32 vcc, 0, v1
	s_and_saveexec_b64 s[4:5], vcc
	s_cbranch_execz .LBB28_21
; %bb.20:
	v_lshrrev_b32_e32 v3, 4, v0
	v_and_b32_e32 v3, 60, v3
	ds_write_b32 v3, v2
.LBB28_21:
	s_or_b64 exec, exec, s[4:5]
	v_cmp_gt_u32_e32 vcc, 16, v0
	s_waitcnt lgkmcnt(0)
	s_barrier
	s_and_saveexec_b64 s[6:7], vcc
	s_cbranch_execz .LBB28_23
; %bb.22:
	v_lshlrev_b32_e32 v2, 2, v1
	ds_read_b32 v2, v2
	v_and_b32_e32 v3, 15, v1
	v_cmp_ne_u32_e32 vcc, 15, v3
	s_add_i32 s4, s18, 63
	s_lshr_b32 s10, s4, 6
	v_addc_co_u32_e32 v4, vcc, 0, v1, vcc
	v_lshlrev_b32_e32 v4, 2, v4
	s_waitcnt lgkmcnt(0)
	ds_bpermute_b32 v4, v4, v2
	v_add_u32_e32 v5, 1, v3
	v_cmp_gt_u32_e64 s[4:5], 14, v3
	v_cmp_gt_u32_e32 vcc, s10, v5
	v_add_u32_e32 v6, 2, v3
	v_cndmask_b32_e64 v5, 0, 1, s[4:5]
	s_waitcnt lgkmcnt(0)
	v_add_f32_e32 v4, v2, v4
	v_lshlrev_b32_e32 v5, 1, v5
	v_cndmask_b32_e32 v4, v2, v4, vcc
	v_add_lshl_u32 v5, v5, v1, 2
	ds_bpermute_b32 v5, v5, v4
	v_cmp_gt_u32_e64 s[4:5], s10, v6
	v_add_u32_e32 v6, 4, v3
	s_waitcnt lgkmcnt(0)
	v_add_f32_e32 v5, v4, v5
	v_cndmask_b32_e64 v4, v4, v5, s[4:5]
	v_cmp_gt_u32_e64 s[4:5], 12, v3
	s_nop 1
	v_cndmask_b32_e64 v5, 0, 1, s[4:5]
	v_lshlrev_b32_e32 v5, 2, v5
	v_add_lshl_u32 v5, v5, v1, 2
	ds_bpermute_b32 v5, v5, v4
	v_cmp_gt_u32_e64 s[4:5], s10, v6
	s_waitcnt lgkmcnt(0)
	v_add_f32_e32 v5, v4, v5
	v_cndmask_b32_e64 v4, v4, v5, s[4:5]
	v_cmp_gt_u32_e64 s[4:5], 8, v3
	v_add_u32_e32 v3, 8, v3
	s_nop 0
	v_cndmask_b32_e64 v5, 0, 1, s[4:5]
	v_lshlrev_b32_e32 v5, 3, v5
	v_add_lshl_u32 v1, v5, v1, 2
	ds_bpermute_b32 v1, v1, v4
	v_cmp_gt_u32_e64 s[4:5], s10, v3
	s_waitcnt lgkmcnt(0)
	v_add_f32_e32 v1, v4, v1
	v_cndmask_b32_e64 v1, v4, v1, s[4:5]
	v_cndmask_b32_e32 v2, v2, v1, vcc
.LBB28_23:
	s_or_b64 exec, exec, s[6:7]
	v_cmp_eq_u32_e32 vcc, 0, v0
	s_and_saveexec_b64 s[4:5], vcc
	s_cbranch_execz .LBB28_25
; %bb.24:
	v_cvt_f32_i32_e32 v1, s3
	s_load_dword s10, s[0:1], 0x28
	v_div_scale_f32 v3, s[6:7], v1, v1, v2
	v_rcp_f32_e32 v4, v3
	v_div_scale_f32 v5, vcc, v2, v1, v2
	s_mov_b32 s6, 0x800000
	v_fma_f32 v6, -v3, v4, 1.0
	v_fmac_f32_e32 v4, v6, v4
	v_mul_f32_e32 v6, v5, v4
	v_fma_f32 v7, -v3, v6, v5
	v_fmac_f32_e32 v6, v7, v4
	v_fma_f32 v3, -v3, v6, v5
	v_div_fmas_f32 v3, v3, v4, v6
	v_div_fixup_f32 v1, v3, v1, v2
	s_waitcnt lgkmcnt(0)
	v_add_f32_e32 v1, s10, v1
	v_mul_f32_e32 v2, 0x4b800000, v1
	v_cmp_gt_f32_e32 vcc, s6, v1
	s_nop 1
	v_cndmask_b32_e32 v1, v1, v2, vcc
	v_rsq_f32_e32 v1, v1
	s_nop 0
	v_mul_f32_e32 v2, 0x45800000, v1
	v_cndmask_b32_e32 v1, v1, v2, vcc
	v_mov_b32_e32 v2, 0
	ds_write_b32 v2, v1 offset:64
.LBB28_25:
	s_or_b64 exec, exec, s[4:5]
	s_lshr_b32 s4, s3, 31
	s_add_i32 s4, s3, s4
	s_ashr_i32 s14, s4, 1
	v_cmp_gt_i32_e32 vcc, s14, v0
	s_waitcnt lgkmcnt(0)
	s_barrier
	s_and_saveexec_b64 s[4:5], vcc
	s_cbranch_execz .LBB28_28
; %bb.26:
	s_load_dwordx4 s[4:7], s[0:1], 0x18
	s_load_dwordx2 s[10:11], s[0:1], 0x0
	s_mul_i32 s2, s2, s3
	v_mov_b32_e32 v3, 0
	ds_read_b32 v1, v3 offset:64
	s_waitcnt lgkmcnt(0)
	s_load_dword s3, s[6:7], 0x0
	s_lshl_b32 s15, s18, 1
	v_lshlrev_b32_e32 v2, 2, v0
	v_lshl_add_u32 v4, v0, 1, s2
	s_mov_b32 s7, 0
	s_waitcnt lgkmcnt(0)
	v_div_scale_f32 v5, s[0:1], s3, s3, 1.0
	v_rcp_f32_e32 v6, v5
	v_div_scale_f32 v7, vcc, 1.0, s3, 1.0
	s_lshl_b32 s6, s18, 2
	v_fma_f32 v8, -v5, v6, 1.0
	v_fmac_f32_e32 v6, v8, v6
	v_mul_f32_e32 v8, v7, v6
	v_fma_f32 v9, -v5, v8, v7
	v_fmac_f32_e32 v8, v9, v6
	v_fma_f32 v5, -v5, v8, v7
	v_div_fmas_f32 v5, v5, v6, v8
	v_div_fixup_f32 v5, v5, s3, 1.0
	s_mov_b64 s[12:13], 0
	s_movk_i32 s16, 0x7fff
	v_mov_b32_e32 v6, 0x7fc00000
	s_mov_b32 s17, 0x7f800000
	s_mov_b32 s19, 0x43700000
	v_mov_b32_e32 v7, 0xc3700000
.LBB28_27:                              ; =>This Inner Loop Header: Depth=1
	v_lshl_add_u64 v[8:9], s[8:9], 0, v[2:3]
	v_lshl_add_u64 v[10:11], s[4:5], 0, v[2:3]
	global_load_dword v12, v[8:9], off
	global_load_dword v13, v[10:11], off
	v_mov_b32_e32 v8, 0
	v_mov_b32_e32 v9, 0
	v_add_u32_e32 v0, s18, v0
	v_cmp_le_i32_e32 vcc, s14, v0
	v_add_u32_e32 v10, 1, v4
	v_lshl_add_u64 v[2:3], v[2:3], 0, s[6:7]
	s_or_b64 s[12:13], vcc, s[12:13]
	s_waitcnt vmcnt(1)
	v_and_b32_e32 v11, 0xffff0000, v12
	v_lshlrev_b32_e32 v12, 16, v12
	v_mul_f32_e32 v12, v1, v12
	v_mul_f32_e32 v11, v1, v11
	v_bfe_u32 v15, v12, 16, 1
	v_bfe_u32 v16, v11, 16, 1
	v_add3_u32 v15, v12, v15, s16
	v_add3_u32 v16, v11, v16, s16
	v_and_b32_e32 v15, 0xffff0000, v15
	v_cmp_o_f32_e64 s[2:3], v12, v12
	s_waitcnt vmcnt(0)
	v_and_b32_e32 v14, 0xffff0000, v13
	v_lshlrev_b32_e32 v13, 16, v13
	v_and_b32_e32 v16, 0xffff0000, v16
	v_cmp_o_f32_e64 s[0:1], v11, v11
	v_cndmask_b32_e64 v11, v6, v15, s[2:3]
	v_mul_f32_e32 v11, v11, v13
	v_cndmask_b32_e64 v12, v6, v16, s[0:1]
	v_mul_f32_e32 v12, v12, v14
	v_bfe_u32 v13, v11, 16, 1
	v_bfe_u32 v14, v12, 16, 1
	v_add3_u32 v13, v11, v13, s16
	v_add3_u32 v14, v12, v14, s16
	v_and_b32_e32 v13, 0xffff0000, v13
	v_cmp_o_f32_e64 s[2:3], v11, v11
	v_and_b32_e32 v14, 0xffff0000, v14
	v_cmp_o_f32_e64 s[0:1], v12, v12
	v_cndmask_b32_e64 v11, v6, v13, s[2:3]
	v_mul_f32_e32 v11, v5, v11
	v_cndmask_b32_e64 v12, v6, v14, s[0:1]
	v_mul_f32_e32 v12, v5, v12
	v_min_f32_e32 v11, 0x43600000, v11
	v_min_f32_e32 v12, 0x43600000, v12
	v_max_f32_e32 v11, 0xc3600000, v11
	v_max_f32_e32 v12, 0xc3600000, v12
	v_med3_f32 v13, v11, s19, v7
	v_cmp_nlg_f32_e64 s[2:3], |v11|, s17
	v_med3_f32 v14, v12, s19, v7
	v_cmp_nlg_f32_e64 s[0:1], |v12|, s17
	v_cndmask_b32_e64 v11, v13, v11, s[2:3]
	v_cvt_pk_fp8_f32 v8, v11, v11
	v_cndmask_b32_e64 v12, v14, v12, s[0:1]
	v_cvt_pk_fp8_f32 v9, v12, v12
	global_store_byte v4, v8, s[10:11]
	global_store_byte v10, v9, s[10:11]
	v_add_u32_e32 v4, s15, v4
	s_andn2_b64 exec, exec, s[12:13]
	s_cbranch_execnz .LBB28_27
.LBB28_28:
	s_endpgm
	.section	.rodata,"a",@progbits
	.p2align	6, 0x0
	.amdhsa_kernel _ZN4vllm32rms_norm_static_fp8_quant_kernelIN3c108BFloat16ENS1_15Float8_e4m3fnuzELi2EEEvPT0_PKT_iS8_PKffii
		.amdhsa_group_segment_fixed_size 68
		.amdhsa_private_segment_fixed_size 0
		.amdhsa_kernarg_size 312
		.amdhsa_user_sgpr_count 2
		.amdhsa_user_sgpr_dispatch_ptr 0
		.amdhsa_user_sgpr_queue_ptr 0
		.amdhsa_user_sgpr_kernarg_segment_ptr 1
		.amdhsa_user_sgpr_dispatch_id 0
		.amdhsa_user_sgpr_kernarg_preload_length 0
		.amdhsa_user_sgpr_kernarg_preload_offset 0
		.amdhsa_user_sgpr_private_segment_size 0
		.amdhsa_uses_dynamic_stack 0
		.amdhsa_enable_private_segment 0
		.amdhsa_system_sgpr_workgroup_id_x 1
		.amdhsa_system_sgpr_workgroup_id_y 0
		.amdhsa_system_sgpr_workgroup_id_z 0
		.amdhsa_system_sgpr_workgroup_info 0
		.amdhsa_system_vgpr_workitem_id 0
		.amdhsa_next_free_vgpr 17
		.amdhsa_next_free_sgpr 22
		.amdhsa_accum_offset 20
		.amdhsa_reserve_vcc 1
		.amdhsa_float_round_mode_32 0
		.amdhsa_float_round_mode_16_64 0
		.amdhsa_float_denorm_mode_32 3
		.amdhsa_float_denorm_mode_16_64 3
		.amdhsa_dx10_clamp 1
		.amdhsa_ieee_mode 1
		.amdhsa_fp16_overflow 0
		.amdhsa_tg_split 0
		.amdhsa_exception_fp_ieee_invalid_op 0
		.amdhsa_exception_fp_denorm_src 0
		.amdhsa_exception_fp_ieee_div_zero 0
		.amdhsa_exception_fp_ieee_overflow 0
		.amdhsa_exception_fp_ieee_underflow 0
		.amdhsa_exception_fp_ieee_inexact 0
		.amdhsa_exception_int_div_zero 0
	.end_amdhsa_kernel
	.section	.text._ZN4vllm32rms_norm_static_fp8_quant_kernelIN3c108BFloat16ENS1_15Float8_e4m3fnuzELi2EEEvPT0_PKT_iS8_PKffii,"axG",@progbits,_ZN4vllm32rms_norm_static_fp8_quant_kernelIN3c108BFloat16ENS1_15Float8_e4m3fnuzELi2EEEvPT0_PKT_iS8_PKffii,comdat
.Lfunc_end28:
	.size	_ZN4vllm32rms_norm_static_fp8_quant_kernelIN3c108BFloat16ENS1_15Float8_e4m3fnuzELi2EEEvPT0_PKT_iS8_PKffii, .Lfunc_end28-_ZN4vllm32rms_norm_static_fp8_quant_kernelIN3c108BFloat16ENS1_15Float8_e4m3fnuzELi2EEEvPT0_PKT_iS8_PKffii
                                        ; -- End function
	.section	.AMDGPU.csdata,"",@progbits
; Kernel info:
; codeLenInByte = 2100
; NumSgprs: 28
; NumVgprs: 17
; NumAgprs: 0
; TotalNumVgprs: 17
; ScratchSize: 0
; MemoryBound: 0
; FloatMode: 240
; IeeeMode: 1
; LDSByteSize: 68 bytes/workgroup (compile time only)
; SGPRBlocks: 3
; VGPRBlocks: 2
; NumSGPRsForWavesPerEU: 28
; NumVGPRsForWavesPerEU: 17
; AccumOffset: 20
; Occupancy: 8
; WaveLimiterHint : 0
; COMPUTE_PGM_RSRC2:SCRATCH_EN: 0
; COMPUTE_PGM_RSRC2:USER_SGPR: 2
; COMPUTE_PGM_RSRC2:TRAP_HANDLER: 0
; COMPUTE_PGM_RSRC2:TGID_X_EN: 1
; COMPUTE_PGM_RSRC2:TGID_Y_EN: 0
; COMPUTE_PGM_RSRC2:TGID_Z_EN: 0
; COMPUTE_PGM_RSRC2:TIDIG_COMP_CNT: 0
; COMPUTE_PGM_RSRC3_GFX90A:ACCUM_OFFSET: 4
; COMPUTE_PGM_RSRC3_GFX90A:TG_SPLIT: 0
	.section	.text._ZN4vllm32rms_norm_static_fp8_quant_kernelIN3c108BFloat16ENS1_15Float8_e4m3fnuzELi1EEEvPT0_PKT_iS8_PKffii,"axG",@progbits,_ZN4vllm32rms_norm_static_fp8_quant_kernelIN3c108BFloat16ENS1_15Float8_e4m3fnuzELi1EEEvPT0_PKT_iS8_PKffii,comdat
	.protected	_ZN4vllm32rms_norm_static_fp8_quant_kernelIN3c108BFloat16ENS1_15Float8_e4m3fnuzELi1EEEvPT0_PKT_iS8_PKffii ; -- Begin function _ZN4vllm32rms_norm_static_fp8_quant_kernelIN3c108BFloat16ENS1_15Float8_e4m3fnuzELi1EEEvPT0_PKT_iS8_PKffii
	.globl	_ZN4vllm32rms_norm_static_fp8_quant_kernelIN3c108BFloat16ENS1_15Float8_e4m3fnuzELi1EEEvPT0_PKT_iS8_PKffii
	.p2align	8
	.type	_ZN4vllm32rms_norm_static_fp8_quant_kernelIN3c108BFloat16ENS1_15Float8_e4m3fnuzELi1EEEvPT0_PKT_iS8_PKffii,@function
_ZN4vllm32rms_norm_static_fp8_quant_kernelIN3c108BFloat16ENS1_15Float8_e4m3fnuzELi1EEEvPT0_PKT_iS8_PKffii: ; @_ZN4vllm32rms_norm_static_fp8_quant_kernelIN3c108BFloat16ENS1_15Float8_e4m3fnuzELi1EEEvPT0_PKT_iS8_PKffii
; %bb.0:
	s_load_dword s4, s[0:1], 0x10
	s_load_dwordx2 s[6:7], s[0:1], 0x8
	s_load_dword s3, s[0:1], 0x30
	s_load_dword s12, s[0:1], 0x44
	s_mov_b32 s5, 0
	s_waitcnt lgkmcnt(0)
	s_mul_i32 s4, s2, s4
	s_lshl_b64 s[10:11], s[4:5], 1
	s_add_u32 s8, s6, s10
	s_addc_u32 s9, s7, s11
	s_and_b32 s16, s12, 0xffff
	s_bitcmp1_b32 s8, 0
	s_cselect_b64 s[4:5], -1, 0
	s_and_b64 vcc, exec, s[4:5]
	s_cbranch_vccz .LBB29_6
; %bb.1:
	s_min_i32 s12, s3, 0
	s_sub_i32 s17, s3, s12
	v_cmp_gt_i32_e32 vcc, s17, v0
	v_mov_b32_e32 v3, 0
	s_and_saveexec_b64 s[4:5], vcc
	s_cbranch_execz .LBB29_5
; %bb.2:
	s_ashr_i32 s13, s12, 31
	s_lshl_b64 s[14:15], s[12:13], 1
	s_add_u32 s12, s6, s10
	s_addc_u32 s18, s7, s11
	s_add_u32 s14, s12, s14
	v_lshlrev_b32_e32 v2, 1, v0
	v_mov_b32_e32 v3, 0
	s_addc_u32 s15, s18, s15
	s_mov_b32 s13, 0
	v_lshl_add_u64 v[4:5], s[14:15], 0, v[2:3]
	s_lshl_b32 s12, s16, 1
	s_mov_b64 s[14:15], 0
	v_mov_b32_e32 v1, v0
.LBB29_3:                               ; =>This Inner Loop Header: Depth=1
	global_load_ushort v2, v[4:5], off
	v_add_u32_e32 v1, s16, v1
	v_cmp_le_i32_e32 vcc, s17, v1
	v_lshl_add_u64 v[4:5], v[4:5], 0, s[12:13]
	s_or_b64 s[14:15], vcc, s[14:15]
	s_waitcnt vmcnt(0)
	v_lshlrev_b32_e32 v2, 16, v2
	v_fmac_f32_e32 v3, v2, v2
	s_andn2_b64 exec, exec, s[14:15]
	s_cbranch_execnz .LBB29_3
; %bb.4:
	s_or_b64 exec, exec, s[14:15]
.LBB29_5:
	s_or_b64 exec, exec, s[4:5]
	v_cmp_gt_i32_e64 s[4:5], s3, v0
	s_cbranch_execz .LBB29_7
	s_branch .LBB29_12
.LBB29_6:
                                        ; implicit-def: $vgpr3
	v_cmp_gt_i32_e64 s[4:5], s3, v0
.LBB29_7:
	v_mov_b32_e32 v3, 0
	s_and_saveexec_b64 s[12:13], s[4:5]
	s_cbranch_execz .LBB29_11
; %bb.8:
	s_add_u32 s6, s6, s10
	v_lshlrev_b32_e32 v2, 1, v0
	v_mov_b32_e32 v3, 0
	s_addc_u32 s7, s7, s11
	s_mov_b32 s5, 0
	v_lshl_add_u64 v[4:5], s[6:7], 0, v[2:3]
	s_lshl_b32 s4, s16, 1
	s_mov_b64 s[6:7], 0
	v_mov_b32_e32 v1, v0
.LBB29_9:                               ; =>This Inner Loop Header: Depth=1
	global_load_ushort v2, v[4:5], off
	v_add_u32_e32 v1, s16, v1
	v_cmp_le_i32_e32 vcc, s3, v1
	v_lshl_add_u64 v[4:5], v[4:5], 0, s[4:5]
	s_or_b64 s[6:7], vcc, s[6:7]
	s_waitcnt vmcnt(0)
	v_lshlrev_b32_e32 v2, 16, v2
	v_fmac_f32_e32 v3, v2, v2
	s_andn2_b64 exec, exec, s[6:7]
	s_cbranch_execnz .LBB29_9
; %bb.10:
	s_or_b64 exec, exec, s[6:7]
.LBB29_11:
	s_or_b64 exec, exec, s[12:13]
.LBB29_12:
	v_mbcnt_lo_u32_b32 v1, -1, 0
	v_mbcnt_hi_u32_b32 v1, -1, v1
	v_and_b32_e32 v2, 63, v1
	v_cmp_ne_u32_e32 vcc, 63, v2
	v_and_b32_e32 v5, 0x3c0, v0
	v_sub_u32_e64 v5, s16, v5 clamp
	v_addc_co_u32_e32 v4, vcc, 0, v1, vcc
	v_lshlrev_b32_e32 v4, 2, v4
	ds_bpermute_b32 v4, v4, v3
	v_add_u32_e32 v6, 1, v1
	v_cmp_lt_u32_e32 vcc, v6, v5
	v_add_u32_e32 v6, 2, v1
	s_waitcnt lgkmcnt(0)
	v_add_f32_e32 v4, v3, v4
	v_cndmask_b32_e32 v3, v3, v4, vcc
	v_cmp_gt_u32_e32 vcc, 62, v2
	s_nop 1
	v_cndmask_b32_e64 v4, 0, 1, vcc
	v_lshlrev_b32_e32 v4, 1, v4
	v_add_lshl_u32 v4, v4, v1, 2
	ds_bpermute_b32 v4, v4, v3
	v_cmp_lt_u32_e32 vcc, v6, v5
	v_add_u32_e32 v6, 4, v1
	s_waitcnt lgkmcnt(0)
	v_add_f32_e32 v4, v3, v4
	v_cndmask_b32_e32 v3, v3, v4, vcc
	v_cmp_gt_u32_e32 vcc, 60, v2
	s_nop 1
	v_cndmask_b32_e64 v4, 0, 1, vcc
	v_lshlrev_b32_e32 v4, 2, v4
	v_add_lshl_u32 v4, v4, v1, 2
	ds_bpermute_b32 v4, v4, v3
	;; [unrolled: 11-line block ×4, first 2 shown]
	v_cmp_lt_u32_e32 vcc, v6, v5
	s_waitcnt lgkmcnt(0)
	v_add_f32_e32 v4, v3, v4
	v_cndmask_b32_e32 v3, v3, v4, vcc
	v_cmp_gt_u32_e32 vcc, 32, v2
	v_add_u32_e32 v4, 32, v1
	s_nop 0
	v_cndmask_b32_e64 v2, 0, 1, vcc
	v_lshlrev_b32_e32 v2, 5, v2
	v_add_lshl_u32 v2, v2, v1, 2
	ds_bpermute_b32 v2, v2, v3
	v_cmp_lt_u32_e32 vcc, v4, v5
	s_waitcnt lgkmcnt(0)
	v_add_f32_e32 v2, v3, v2
	v_cndmask_b32_e32 v2, v3, v2, vcc
	v_cmp_eq_u32_e32 vcc, 0, v1
	s_and_saveexec_b64 s[4:5], vcc
	s_cbranch_execz .LBB29_14
; %bb.13:
	v_lshrrev_b32_e32 v3, 4, v0
	v_and_b32_e32 v3, 60, v3
	ds_write_b32 v3, v2
.LBB29_14:
	s_or_b64 exec, exec, s[4:5]
	v_cmp_gt_u32_e32 vcc, 16, v0
	s_waitcnt lgkmcnt(0)
	s_barrier
	s_and_saveexec_b64 s[6:7], vcc
	s_cbranch_execz .LBB29_16
; %bb.15:
	v_lshlrev_b32_e32 v2, 2, v1
	ds_read_b32 v2, v2
	v_and_b32_e32 v3, 15, v1
	v_cmp_ne_u32_e32 vcc, 15, v3
	s_add_i32 s4, s16, 63
	s_lshr_b32 s10, s4, 6
	v_addc_co_u32_e32 v4, vcc, 0, v1, vcc
	v_lshlrev_b32_e32 v4, 2, v4
	s_waitcnt lgkmcnt(0)
	ds_bpermute_b32 v4, v4, v2
	v_add_u32_e32 v5, 1, v3
	v_cmp_gt_u32_e64 s[4:5], 14, v3
	v_cmp_gt_u32_e32 vcc, s10, v5
	v_add_u32_e32 v6, 2, v3
	v_cndmask_b32_e64 v5, 0, 1, s[4:5]
	s_waitcnt lgkmcnt(0)
	v_add_f32_e32 v4, v2, v4
	v_lshlrev_b32_e32 v5, 1, v5
	v_cndmask_b32_e32 v4, v2, v4, vcc
	v_add_lshl_u32 v5, v5, v1, 2
	ds_bpermute_b32 v5, v5, v4
	v_cmp_gt_u32_e64 s[4:5], s10, v6
	v_add_u32_e32 v6, 4, v3
	s_waitcnt lgkmcnt(0)
	v_add_f32_e32 v5, v4, v5
	v_cndmask_b32_e64 v4, v4, v5, s[4:5]
	v_cmp_gt_u32_e64 s[4:5], 12, v3
	s_nop 1
	v_cndmask_b32_e64 v5, 0, 1, s[4:5]
	v_lshlrev_b32_e32 v5, 2, v5
	v_add_lshl_u32 v5, v5, v1, 2
	ds_bpermute_b32 v5, v5, v4
	v_cmp_gt_u32_e64 s[4:5], s10, v6
	s_waitcnt lgkmcnt(0)
	v_add_f32_e32 v5, v4, v5
	v_cndmask_b32_e64 v4, v4, v5, s[4:5]
	v_cmp_gt_u32_e64 s[4:5], 8, v3
	v_add_u32_e32 v3, 8, v3
	s_nop 0
	v_cndmask_b32_e64 v5, 0, 1, s[4:5]
	v_lshlrev_b32_e32 v5, 3, v5
	v_add_lshl_u32 v1, v5, v1, 2
	ds_bpermute_b32 v1, v1, v4
	v_cmp_gt_u32_e64 s[4:5], s10, v3
	s_waitcnt lgkmcnt(0)
	v_add_f32_e32 v1, v4, v1
	v_cndmask_b32_e64 v1, v4, v1, s[4:5]
	v_cndmask_b32_e32 v2, v2, v1, vcc
.LBB29_16:
	s_or_b64 exec, exec, s[6:7]
	v_cmp_eq_u32_e32 vcc, 0, v0
	s_and_saveexec_b64 s[4:5], vcc
	s_cbranch_execz .LBB29_18
; %bb.17:
	v_cvt_f32_i32_e32 v1, s3
	s_load_dword s10, s[0:1], 0x28
	v_div_scale_f32 v3, s[6:7], v1, v1, v2
	v_rcp_f32_e32 v4, v3
	v_div_scale_f32 v5, vcc, v2, v1, v2
	s_mov_b32 s6, 0x800000
	v_fma_f32 v6, -v3, v4, 1.0
	v_fmac_f32_e32 v4, v6, v4
	v_mul_f32_e32 v6, v5, v4
	v_fma_f32 v7, -v3, v6, v5
	v_fmac_f32_e32 v6, v7, v4
	v_fma_f32 v3, -v3, v6, v5
	v_div_fmas_f32 v3, v3, v4, v6
	v_div_fixup_f32 v1, v3, v1, v2
	s_waitcnt lgkmcnt(0)
	v_add_f32_e32 v1, s10, v1
	v_mul_f32_e32 v2, 0x4b800000, v1
	v_cmp_gt_f32_e32 vcc, s6, v1
	s_nop 1
	v_cndmask_b32_e32 v1, v1, v2, vcc
	v_rsq_f32_e32 v1, v1
	s_nop 0
	v_mul_f32_e32 v2, 0x45800000, v1
	v_cndmask_b32_e32 v1, v1, v2, vcc
	v_mov_b32_e32 v2, 0
	ds_write_b32 v2, v1 offset:64
.LBB29_18:
	s_or_b64 exec, exec, s[4:5]
	v_cmp_gt_i32_e32 vcc, s3, v0
	s_waitcnt lgkmcnt(0)
	s_barrier
	s_and_saveexec_b64 s[4:5], vcc
	s_cbranch_execz .LBB29_21
; %bb.19:
	s_load_dwordx4 s[4:7], s[0:1], 0x18
	s_load_dwordx2 s[10:11], s[0:1], 0x0
	v_mov_b32_e32 v1, 0
	ds_read_b32 v3, v1 offset:64
	s_mul_i32 s2, s2, s3
	s_waitcnt lgkmcnt(0)
	s_load_dword s7, s[6:7], 0x0
	s_mov_b64 s[0:1], 0
	s_movk_i32 s6, 0x7fff
	v_mov_b32_e32 v2, 0x7fc00000
	s_waitcnt lgkmcnt(0)
	v_div_scale_f32 v4, s[12:13], s7, s7, 1.0
	v_rcp_f32_e32 v5, v4
	v_div_scale_f32 v1, vcc, 1.0, s7, 1.0
	s_mov_b32 s12, 0x43700000
	v_fma_f32 v6, -v4, v5, 1.0
	v_fmac_f32_e32 v5, v6, v5
	v_mul_f32_e32 v6, v1, v5
	v_fma_f32 v7, -v4, v6, v1
	v_fmac_f32_e32 v6, v7, v5
	v_fma_f32 v1, -v4, v6, v1
	v_div_fmas_f32 v1, v1, v5, v6
	v_div_fixup_f32 v4, v1, s7, 1.0
	s_mov_b32 s7, 0x7f800000
	v_mov_b32_e32 v5, 0xc3700000
.LBB29_20:                              ; =>This Inner Loop Header: Depth=1
	v_ashrrev_i32_e32 v1, 31, v0
	v_lshlrev_b64 v[6:7], 1, v[0:1]
	v_lshl_add_u64 v[8:9], s[8:9], 0, v[6:7]
	v_lshl_add_u64 v[6:7], s[4:5], 0, v[6:7]
	global_load_ushort v1, v[8:9], off
	global_load_ushort v10, v[6:7], off
	v_mov_b32_e32 v6, 0
	s_waitcnt vmcnt(1)
	v_lshlrev_b32_e32 v1, 16, v1
	v_mul_f32_e32 v1, v3, v1
	v_bfe_u32 v8, v1, 16, 1
	v_add3_u32 v8, v1, v8, s6
	v_and_b32_e32 v8, 0xffff0000, v8
	v_cmp_o_f32_e32 vcc, v1, v1
	s_waitcnt vmcnt(0)
	v_lshlrev_b32_e32 v7, 16, v10
	v_cndmask_b32_e32 v1, v2, v8, vcc
	v_mul_f32_e32 v1, v1, v7
	v_bfe_u32 v7, v1, 16, 1
	v_add3_u32 v7, v1, v7, s6
	v_and_b32_e32 v7, 0xffff0000, v7
	v_cmp_o_f32_e32 vcc, v1, v1
	s_nop 1
	v_cndmask_b32_e32 v1, v2, v7, vcc
	v_mul_f32_e32 v1, v4, v1
	v_min_f32_e32 v1, 0x43600000, v1
	v_max_f32_e32 v1, 0xc3600000, v1
	v_med3_f32 v7, v1, s12, v5
	v_cmp_nlg_f32_e64 vcc, |v1|, s7
	s_nop 1
	v_cndmask_b32_e32 v1, v7, v1, vcc
	v_cvt_pk_fp8_f32 v6, v1, v1
	v_add_u32_e32 v1, s2, v0
	v_add_u32_e32 v0, s16, v0
	v_cmp_le_i32_e32 vcc, s3, v0
	s_or_b64 s[0:1], vcc, s[0:1]
	global_store_byte v1, v6, s[10:11]
	s_andn2_b64 exec, exec, s[0:1]
	s_cbranch_execnz .LBB29_20
.LBB29_21:
	s_endpgm
	.section	.rodata,"a",@progbits
	.p2align	6, 0x0
	.amdhsa_kernel _ZN4vllm32rms_norm_static_fp8_quant_kernelIN3c108BFloat16ENS1_15Float8_e4m3fnuzELi1EEEvPT0_PKT_iS8_PKffii
		.amdhsa_group_segment_fixed_size 68
		.amdhsa_private_segment_fixed_size 0
		.amdhsa_kernarg_size 312
		.amdhsa_user_sgpr_count 2
		.amdhsa_user_sgpr_dispatch_ptr 0
		.amdhsa_user_sgpr_queue_ptr 0
		.amdhsa_user_sgpr_kernarg_segment_ptr 1
		.amdhsa_user_sgpr_dispatch_id 0
		.amdhsa_user_sgpr_kernarg_preload_length 0
		.amdhsa_user_sgpr_kernarg_preload_offset 0
		.amdhsa_user_sgpr_private_segment_size 0
		.amdhsa_uses_dynamic_stack 0
		.amdhsa_enable_private_segment 0
		.amdhsa_system_sgpr_workgroup_id_x 1
		.amdhsa_system_sgpr_workgroup_id_y 0
		.amdhsa_system_sgpr_workgroup_id_z 0
		.amdhsa_system_sgpr_workgroup_info 0
		.amdhsa_system_vgpr_workitem_id 0
		.amdhsa_next_free_vgpr 11
		.amdhsa_next_free_sgpr 19
		.amdhsa_accum_offset 12
		.amdhsa_reserve_vcc 1
		.amdhsa_float_round_mode_32 0
		.amdhsa_float_round_mode_16_64 0
		.amdhsa_float_denorm_mode_32 3
		.amdhsa_float_denorm_mode_16_64 3
		.amdhsa_dx10_clamp 1
		.amdhsa_ieee_mode 1
		.amdhsa_fp16_overflow 0
		.amdhsa_tg_split 0
		.amdhsa_exception_fp_ieee_invalid_op 0
		.amdhsa_exception_fp_denorm_src 0
		.amdhsa_exception_fp_ieee_div_zero 0
		.amdhsa_exception_fp_ieee_overflow 0
		.amdhsa_exception_fp_ieee_underflow 0
		.amdhsa_exception_fp_ieee_inexact 0
		.amdhsa_exception_int_div_zero 0
	.end_amdhsa_kernel
	.section	.text._ZN4vllm32rms_norm_static_fp8_quant_kernelIN3c108BFloat16ENS1_15Float8_e4m3fnuzELi1EEEvPT0_PKT_iS8_PKffii,"axG",@progbits,_ZN4vllm32rms_norm_static_fp8_quant_kernelIN3c108BFloat16ENS1_15Float8_e4m3fnuzELi1EEEvPT0_PKT_iS8_PKffii,comdat
.Lfunc_end29:
	.size	_ZN4vllm32rms_norm_static_fp8_quant_kernelIN3c108BFloat16ENS1_15Float8_e4m3fnuzELi1EEEvPT0_PKT_iS8_PKffii, .Lfunc_end29-_ZN4vllm32rms_norm_static_fp8_quant_kernelIN3c108BFloat16ENS1_15Float8_e4m3fnuzELi1EEEvPT0_PKT_iS8_PKffii
                                        ; -- End function
	.section	.AMDGPU.csdata,"",@progbits
; Kernel info:
; codeLenInByte = 1608
; NumSgprs: 25
; NumVgprs: 11
; NumAgprs: 0
; TotalNumVgprs: 11
; ScratchSize: 0
; MemoryBound: 0
; FloatMode: 240
; IeeeMode: 1
; LDSByteSize: 68 bytes/workgroup (compile time only)
; SGPRBlocks: 3
; VGPRBlocks: 1
; NumSGPRsForWavesPerEU: 25
; NumVGPRsForWavesPerEU: 11
; AccumOffset: 12
; Occupancy: 8
; WaveLimiterHint : 0
; COMPUTE_PGM_RSRC2:SCRATCH_EN: 0
; COMPUTE_PGM_RSRC2:USER_SGPR: 2
; COMPUTE_PGM_RSRC2:TRAP_HANDLER: 0
; COMPUTE_PGM_RSRC2:TGID_X_EN: 1
; COMPUTE_PGM_RSRC2:TGID_Y_EN: 0
; COMPUTE_PGM_RSRC2:TGID_Z_EN: 0
; COMPUTE_PGM_RSRC2:TIDIG_COMP_CNT: 0
; COMPUTE_PGM_RSRC3_GFX90A:ACCUM_OFFSET: 2
; COMPUTE_PGM_RSRC3_GFX90A:TG_SPLIT: 0
	.section	.text._ZN4vllm42fused_add_rms_norm_static_fp8_quant_kernelIfLi8EN3c1013Float8_e4m3fnEEENSt9enable_ifIXaagtT0_Li0Esr12_typeConvertIT_EE6existsEvE4typeEPT1_PS4_iS9_PKS4_PKffii,"axG",@progbits,_ZN4vllm42fused_add_rms_norm_static_fp8_quant_kernelIfLi8EN3c1013Float8_e4m3fnEEENSt9enable_ifIXaagtT0_Li0Esr12_typeConvertIT_EE6existsEvE4typeEPT1_PS4_iS9_PKS4_PKffii,comdat
	.protected	_ZN4vllm42fused_add_rms_norm_static_fp8_quant_kernelIfLi8EN3c1013Float8_e4m3fnEEENSt9enable_ifIXaagtT0_Li0Esr12_typeConvertIT_EE6existsEvE4typeEPT1_PS4_iS9_PKS4_PKffii ; -- Begin function _ZN4vllm42fused_add_rms_norm_static_fp8_quant_kernelIfLi8EN3c1013Float8_e4m3fnEEENSt9enable_ifIXaagtT0_Li0Esr12_typeConvertIT_EE6existsEvE4typeEPT1_PS4_iS9_PKS4_PKffii
	.globl	_ZN4vllm42fused_add_rms_norm_static_fp8_quant_kernelIfLi8EN3c1013Float8_e4m3fnEEENSt9enable_ifIXaagtT0_Li0Esr12_typeConvertIT_EE6existsEvE4typeEPT1_PS4_iS9_PKS4_PKffii
	.p2align	8
	.type	_ZN4vllm42fused_add_rms_norm_static_fp8_quant_kernelIfLi8EN3c1013Float8_e4m3fnEEENSt9enable_ifIXaagtT0_Li0Esr12_typeConvertIT_EE6existsEvE4typeEPT1_PS4_iS9_PKS4_PKffii,@function
_ZN4vllm42fused_add_rms_norm_static_fp8_quant_kernelIfLi8EN3c1013Float8_e4m3fnEEENSt9enable_ifIXaagtT0_Li0Esr12_typeConvertIT_EE6existsEvE4typeEPT1_PS4_iS9_PKS4_PKffii: ; @_ZN4vllm42fused_add_rms_norm_static_fp8_quant_kernelIfLi8EN3c1013Float8_e4m3fnEEENSt9enable_ifIXaagtT0_Li0Esr12_typeConvertIT_EE6existsEvE4typeEPT1_PS4_iS9_PKS4_PKffii
; %bb.0:
	s_load_dword s18, s[0:1], 0x38
                                        ; implicit-def: $sgpr12
	s_waitcnt lgkmcnt(0)
	s_ashr_i32 s3, s18, 31
	s_lshr_b32 s3, s3, 29
	s_add_i32 s3, s18, s3
	s_ashr_i32 s16, s3, 3
	v_cmp_gt_i32_e64 s[4:5], s16, v0
	v_cmp_le_i32_e32 vcc, s16, v0
                                        ; implicit-def: $sgpr3
	s_and_saveexec_b64 s[6:7], vcc
	s_xor_b64 s[6:7], exec, s[6:7]
	s_cbranch_execz .LBB30_2
; %bb.1:
	s_load_dword s3, s[0:1], 0x4c
	s_mov_b32 s12, 0
	s_waitcnt lgkmcnt(0)
	s_and_b32 s3, s3, 0xffff
.LBB30_2:
	s_or_saveexec_b64 s[8:9], s[6:7]
	s_load_dwordx2 s[10:11], s[0:1], 0x28
	s_load_dwordx2 s[6:7], s[0:1], 0x18
	v_mov_b32_e32 v1, s12
	v_mov_b32_e32 v18, s3
	s_mul_i32 s17, s16, s2
	s_xor_b64 exec, exec, s[8:9]
	s_cbranch_execz .LBB30_6
; %bb.3:
	s_load_dword s19, s[0:1], 0x10
	s_load_dword s3, s[0:1], 0x4c
	s_load_dwordx2 s[12:13], s[0:1], 0x8
	s_mov_b64 s[14:15], 0
	v_mov_b32_e32 v1, 0
	s_waitcnt lgkmcnt(0)
	s_ashr_i32 s20, s19, 31
	s_lshr_b32 s20, s20, 29
	s_add_i32 s19, s19, s20
	s_ashr_i32 s19, s19, 3
	s_and_b32 s3, s3, 0xffff
	s_mul_i32 s2, s19, s2
	v_mov_b32_e32 v2, v0
.LBB30_4:                               ; =>This Inner Loop Header: Depth=1
	v_add_u32_e32 v4, s2, v2
	v_add_u32_e32 v6, s17, v2
	v_ashrrev_i32_e32 v5, 31, v4
	v_ashrrev_i32_e32 v7, 31, v6
	v_lshlrev_b64 v[4:5], 5, v[4:5]
	v_lshlrev_b64 v[6:7], 5, v[6:7]
	v_lshl_add_u64 v[20:21], s[12:13], 0, v[4:5]
	v_lshl_add_u64 v[22:23], s[6:7], 0, v[6:7]
	global_load_dwordx4 v[4:7], v[20:21], off
	global_load_dwordx4 v[8:11], v[22:23], off
	global_load_dwordx4 v[12:15], v[20:21], off offset:16
	global_load_dwordx4 v[16:19], v[22:23], off offset:16
	v_add_u32_e32 v2, s3, v2
	v_cmp_le_i32_e32 vcc, s16, v2
	s_or_b64 s[14:15], vcc, s[14:15]
	s_waitcnt vmcnt(3)
	v_mov_b32_e32 v21, v6
	s_waitcnt vmcnt(2)
	v_mov_b32_e32 v25, v10
	v_mov_b32_e32 v6, v5
	;; [unrolled: 1-line block ×5, first 2 shown]
	s_waitcnt vmcnt(1)
	v_mov_b32_e32 v5, v14
	s_waitcnt vmcnt(0)
	v_mov_b32_e32 v9, v18
	v_mov_b32_e32 v14, v13
	;; [unrolled: 1-line block ×3, first 2 shown]
	v_pk_add_f32 v[6:7], v[6:7], v[10:11]
	v_mov_b32_e32 v4, v12
	v_mov_b32_e32 v8, v16
	v_pk_add_f32 v[12:13], v[20:21], v[24:25]
	v_pk_add_f32 v[10:11], v[14:15], v[18:19]
	v_pk_mul_f32 v[14:15], v[6:7], v[6:7]
	v_pk_add_f32 v[16:17], v[4:5], v[8:9]
	v_pk_mul_f32 v[18:19], v[10:11], v[10:11]
	v_mov_b32_e32 v4, v12
	v_mov_b32_e32 v5, v6
	;; [unrolled: 1-line block ×3, first 2 shown]
	v_pk_fma_f32 v[12:13], v[12:13], v[12:13], v[14:15]
	v_pk_fma_f32 v[14:15], v[16:17], v[16:17], v[18:19]
	v_add_f32_e32 v3, v12, v13
	v_add_f32_e32 v3, v3, v14
	;; [unrolled: 1-line block ×4, first 2 shown]
	v_mov_b32_e32 v8, v16
	v_mov_b32_e32 v9, v10
	;; [unrolled: 1-line block ×3, first 2 shown]
	global_store_dwordx4 v[22:23], v[4:7], off
	global_store_dwordx4 v[22:23], v[8:11], off offset:16
	s_andn2_b64 exec, exec, s[14:15]
	s_cbranch_execnz .LBB30_4
; %bb.5:
	s_or_b64 exec, exec, s[14:15]
	v_mov_b32_e32 v18, s3
.LBB30_6:
	s_or_b64 exec, exec, s[8:9]
	v_mbcnt_lo_u32_b32 v2, -1, 0
	v_mbcnt_hi_u32_b32 v2, -1, v2
	v_and_b32_e32 v3, 63, v2
	v_cmp_ne_u32_e32 vcc, 63, v3
	v_and_b32_e32 v5, 0x3c0, v0
	v_sub_u32_e64 v5, v18, v5 clamp
	v_addc_co_u32_e32 v4, vcc, 0, v2, vcc
	v_lshlrev_b32_e32 v4, 2, v4
	ds_bpermute_b32 v4, v4, v1
	v_add_u32_e32 v6, 1, v2
	v_cmp_lt_u32_e32 vcc, v6, v5
	v_add_u32_e32 v6, 2, v2
	s_load_dwordx2 s[8:9], s[0:1], 0x0
	s_load_dwordx2 s[12:13], s[0:1], 0x20
	s_waitcnt lgkmcnt(0)
	v_add_f32_e32 v4, v1, v4
	v_cndmask_b32_e32 v1, v1, v4, vcc
	v_cmp_gt_u32_e32 vcc, 62, v3
	s_nop 1
	v_cndmask_b32_e64 v4, 0, 1, vcc
	v_lshlrev_b32_e32 v4, 1, v4
	v_add_lshl_u32 v4, v4, v2, 2
	ds_bpermute_b32 v4, v4, v1
	v_cmp_lt_u32_e32 vcc, v6, v5
	v_add_u32_e32 v6, 4, v2
	s_waitcnt lgkmcnt(0)
	v_add_f32_e32 v4, v1, v4
	v_cndmask_b32_e32 v1, v1, v4, vcc
	v_cmp_gt_u32_e32 vcc, 60, v3
	s_nop 1
	v_cndmask_b32_e64 v4, 0, 1, vcc
	v_lshlrev_b32_e32 v4, 2, v4
	v_add_lshl_u32 v4, v4, v2, 2
	ds_bpermute_b32 v4, v4, v1
	v_cmp_lt_u32_e32 vcc, v6, v5
	v_add_u32_e32 v6, 8, v2
	;; [unrolled: 11-line block ×3, first 2 shown]
	s_waitcnt lgkmcnt(0)
	v_add_f32_e32 v4, v1, v4
	v_cndmask_b32_e32 v1, v1, v4, vcc
	v_cmp_gt_u32_e32 vcc, 48, v3
	s_nop 1
	v_cndmask_b32_e64 v4, 0, 1, vcc
	v_lshlrev_b32_e32 v4, 4, v4
	v_add_lshl_u32 v4, v4, v2, 2
	ds_bpermute_b32 v4, v4, v1
	v_cmp_lt_u32_e32 vcc, v6, v5
	s_waitcnt lgkmcnt(0)
	v_add_f32_e32 v4, v1, v4
	v_cndmask_b32_e32 v1, v1, v4, vcc
	v_cmp_gt_u32_e32 vcc, 32, v3
	v_add_u32_e32 v4, 32, v2
	s_nop 0
	v_cndmask_b32_e64 v3, 0, 1, vcc
	v_lshlrev_b32_e32 v3, 5, v3
	v_add_lshl_u32 v3, v3, v2, 2
	ds_bpermute_b32 v3, v3, v1
	v_cmp_lt_u32_e32 vcc, v4, v5
	s_waitcnt lgkmcnt(0)
	v_add_f32_e32 v3, v1, v3
	v_cndmask_b32_e32 v1, v1, v3, vcc
	v_cmp_eq_u32_e32 vcc, 0, v2
	s_and_saveexec_b64 s[2:3], vcc
	s_cbranch_execz .LBB30_8
; %bb.7:
	v_lshrrev_b32_e32 v3, 4, v0
	v_and_b32_e32 v3, 60, v3
	ds_write_b32 v3, v1
.LBB30_8:
	s_or_b64 exec, exec, s[2:3]
	v_cmp_gt_u32_e32 vcc, 16, v0
	s_waitcnt lgkmcnt(0)
	s_barrier
	s_and_saveexec_b64 s[14:15], vcc
	s_cbranch_execz .LBB30_10
; %bb.9:
	v_lshlrev_b32_e32 v1, 2, v2
	ds_read_b32 v1, v1
	v_and_b32_e32 v3, 15, v2
	v_cmp_ne_u32_e32 vcc, 15, v3
	v_add_u32_e32 v5, 63, v18
	v_lshrrev_b32_e32 v5, 6, v5
	v_addc_co_u32_e32 v4, vcc, 0, v2, vcc
	v_lshlrev_b32_e32 v4, 2, v4
	s_waitcnt lgkmcnt(0)
	ds_bpermute_b32 v4, v4, v1
	v_add_u32_e32 v6, 1, v3
	v_cmp_gt_u32_e64 s[2:3], 14, v3
	v_cmp_lt_u32_e32 vcc, v6, v5
	v_add_u32_e32 v7, 2, v3
	v_cndmask_b32_e64 v6, 0, 1, s[2:3]
	s_waitcnt lgkmcnt(0)
	v_add_f32_e32 v4, v1, v4
	v_lshlrev_b32_e32 v6, 1, v6
	v_cndmask_b32_e32 v4, v1, v4, vcc
	v_add_lshl_u32 v6, v6, v2, 2
	ds_bpermute_b32 v6, v6, v4
	v_cmp_lt_u32_e64 s[2:3], v7, v5
	v_add_u32_e32 v7, 4, v3
	s_waitcnt lgkmcnt(0)
	v_add_f32_e32 v6, v4, v6
	v_cndmask_b32_e64 v4, v4, v6, s[2:3]
	v_cmp_gt_u32_e64 s[2:3], 12, v3
	s_nop 1
	v_cndmask_b32_e64 v6, 0, 1, s[2:3]
	v_lshlrev_b32_e32 v6, 2, v6
	v_add_lshl_u32 v6, v6, v2, 2
	ds_bpermute_b32 v6, v6, v4
	v_cmp_lt_u32_e64 s[2:3], v7, v5
	s_waitcnt lgkmcnt(0)
	v_add_f32_e32 v6, v4, v6
	v_cndmask_b32_e64 v4, v4, v6, s[2:3]
	v_cmp_gt_u32_e64 s[2:3], 8, v3
	v_add_u32_e32 v3, 8, v3
	s_nop 0
	v_cndmask_b32_e64 v6, 0, 1, s[2:3]
	v_lshlrev_b32_e32 v6, 3, v6
	v_add_lshl_u32 v2, v6, v2, 2
	ds_bpermute_b32 v2, v2, v4
	v_cmp_lt_u32_e64 s[2:3], v3, v5
	s_waitcnt lgkmcnt(0)
	v_add_f32_e32 v2, v4, v2
	v_cndmask_b32_e64 v2, v4, v2, s[2:3]
	v_cndmask_b32_e32 v1, v1, v2, vcc
.LBB30_10:
	s_or_b64 exec, exec, s[14:15]
	v_cmp_eq_u32_e32 vcc, 0, v0
	s_and_saveexec_b64 s[2:3], vcc
	s_cbranch_execz .LBB30_12
; %bb.11:
	v_cvt_f32_i32_e32 v2, s18
	s_load_dword s14, s[0:1], 0x30
	v_div_scale_f32 v3, s[0:1], v2, v2, v1
	v_rcp_f32_e32 v4, v3
	v_div_scale_f32 v5, vcc, v1, v2, v1
	s_mov_b32 s0, 0x800000
	v_fma_f32 v6, -v3, v4, 1.0
	v_fmac_f32_e32 v4, v6, v4
	v_mul_f32_e32 v6, v5, v4
	v_fma_f32 v7, -v3, v6, v5
	v_fmac_f32_e32 v6, v7, v4
	v_fma_f32 v3, -v3, v6, v5
	v_div_fmas_f32 v3, v3, v4, v6
	v_div_fixup_f32 v1, v3, v2, v1
	s_waitcnt lgkmcnt(0)
	v_add_f32_e32 v1, s14, v1
	v_mul_f32_e32 v2, 0x4b800000, v1
	v_cmp_gt_f32_e32 vcc, s0, v1
	s_nop 1
	v_cndmask_b32_e32 v1, v1, v2, vcc
	v_rsq_f32_e32 v1, v1
	s_nop 0
	v_mul_f32_e32 v2, 0x45800000, v1
	v_cndmask_b32_e32 v1, v1, v2, vcc
	v_mov_b32_e32 v2, 0
	ds_write_b32 v2, v1 offset:64
.LBB30_12:
	s_or_b64 exec, exec, s[2:3]
	s_waitcnt lgkmcnt(0)
	s_barrier
	s_and_saveexec_b64 s[0:1], s[4:5]
	s_cbranch_execz .LBB30_63
; %bb.13:
	s_load_dword s2, s[10:11], 0x0
	v_mov_b32_e32 v3, 0
	ds_read_b32 v1, v3 offset:64
	v_mov_b32_e32 v19, v3
	v_add_lshl_u32 v20, v0, s17, 3
	s_waitcnt lgkmcnt(0)
	v_div_scale_f32 v2, s[0:1], s2, s2, 1.0
	v_rcp_f32_e32 v4, v2
	v_div_scale_f32 v5, vcc, 1.0, s2, 1.0
	v_lshlrev_b32_e32 v29, 3, v18
	v_fma_f32 v6, -v2, v4, 1.0
	v_fmac_f32_e32 v4, v6, v4
	v_mul_f32_e32 v6, v5, v4
	v_fma_f32 v7, -v2, v6, v5
	v_fmac_f32_e32 v6, v7, v4
	v_fma_f32 v2, -v2, v6, v5
	v_div_fmas_f32 v2, v2, v4, v6
	v_div_fixup_f32 v28, v2, s2, 1.0
	v_lshlrev_b32_e32 v2, 5, v0
	v_lshl_add_u64 v[4:5], v[2:3], 0, s[12:13]
	v_lshl_add_u64 v[22:23], v[4:5], 0, 28
	v_lshlrev_b64 v[24:25], 5, v[18:19]
	s_mov_b64 s[0:1], 0
	s_mov_b32 s10, 0x43f00000
	s_mov_b32 s11, 0x3c7fffff
	;; [unrolled: 1-line block ×4, first 2 shown]
	s_movk_i32 s14, 0x80
	s_branch .LBB30_16
.LBB30_14:                              ;   in Loop: Header=BB30_16 Depth=1
	s_or_b64 exec, exec, s[4:5]
.LBB30_15:                              ;   in Loop: Header=BB30_16 Depth=1
	s_or_b64 exec, exec, s[2:3]
	v_add_u32_e32 v0, v0, v18
	v_lshrrev_b32_e32 v3, 24, v3
	v_cmp_le_i32_e32 vcc, s16, v0
	v_and_or_b32 v2, v3, s14, v2
	v_add_u32_e32 v20, v20, v29
	s_or_b64 s[0:1], vcc, s[0:1]
	v_lshl_add_u64 v[22:23], v[22:23], 0, v[24:25]
	global_store_byte v[26:27], v2, off offset:7
	s_andn2_b64 exec, exec, s[0:1]
	s_cbranch_execz .LBB30_63
.LBB30_16:                              ; =>This Inner Loop Header: Depth=1
	v_add_u32_e32 v2, s17, v0
	v_ashrrev_i32_e32 v3, 31, v2
	v_lshlrev_b64 v[2:3], 5, v[2:3]
	v_lshl_add_u64 v[26:27], s[6:7], 0, v[2:3]
	global_load_dwordx4 v[10:13], v[26:27], off
	global_load_dwordx4 v[14:17], v[22:23], off offset:-28
	global_load_dwordx4 v[2:5], v[26:27], off offset:16
	global_load_dwordx4 v[6:9], v[22:23], off offset:-12
	v_mov_b32_e32 v19, 0x7f
	s_waitcnt vmcnt(3)
	v_mul_f32_e32 v10, v10, v1
	s_waitcnt vmcnt(2)
	v_mul_f32_e32 v10, v10, v14
	v_mul_f32_e32 v10, v28, v10
	v_min_f32_e32 v10, 0x43e00000, v10
	v_max_f32_e32 v10, 0xc3e00000, v10
	v_and_b32_e32 v21, 0x7fffffff, v10
	v_cmp_gt_u32_e32 vcc, s10, v21
	v_mov_b32_e32 v14, 0x7f
	s_and_saveexec_b64 s[2:3], vcc
	s_cbranch_execz .LBB30_22
; %bb.17:                               ;   in Loop: Header=BB30_16 Depth=1
	v_cmp_lt_u32_e32 vcc, s11, v21
                                        ; implicit-def: $vgpr14
	s_and_saveexec_b64 s[4:5], vcc
	s_xor_b64 s[4:5], exec, s[4:5]
; %bb.18:                               ;   in Loop: Header=BB30_16 Depth=1
	v_bfe_u32 v14, v10, 20, 1
	v_add3_u32 v14, v10, v14, s12
	v_lshrrev_b32_e32 v14, 20, v14
; %bb.19:                               ;   in Loop: Header=BB30_16 Depth=1
	s_andn2_saveexec_b64 s[4:5], s[4:5]
; %bb.20:                               ;   in Loop: Header=BB30_16 Depth=1
	v_add_f32_e64 v14, |v10|, s13
; %bb.21:                               ;   in Loop: Header=BB30_16 Depth=1
	s_or_b64 exec, exec, s[4:5]
.LBB30_22:                              ;   in Loop: Header=BB30_16 Depth=1
	s_or_b64 exec, exec, s[2:3]
	v_lshrrev_b32_e32 v10, 24, v10
	v_ashrrev_i32_e32 v21, 31, v20
	v_and_or_b32 v10, v10, s14, v14
	v_lshl_add_u64 v[26:27], s[8:9], 0, v[20:21]
	global_store_byte v[26:27], v10, off
	v_mul_f32_e32 v10, v11, v1
	v_mul_f32_e32 v10, v10, v15
	v_mul_f32_e32 v10, v28, v10
	v_min_f32_e32 v10, 0x43e00000, v10
	v_max_f32_e32 v10, 0xc3e00000, v10
	v_and_b32_e32 v11, 0x7fffffff, v10
	v_cmp_gt_u32_e32 vcc, s10, v11
	s_and_saveexec_b64 s[2:3], vcc
	s_cbranch_execz .LBB30_28
; %bb.23:                               ;   in Loop: Header=BB30_16 Depth=1
	v_cmp_lt_u32_e32 vcc, s11, v11
                                        ; implicit-def: $vgpr19
	s_and_saveexec_b64 s[4:5], vcc
	s_xor_b64 s[4:5], exec, s[4:5]
; %bb.24:                               ;   in Loop: Header=BB30_16 Depth=1
	v_bfe_u32 v11, v10, 20, 1
	v_add3_u32 v11, v10, v11, s12
	v_lshrrev_b32_e32 v19, 20, v11
; %bb.25:                               ;   in Loop: Header=BB30_16 Depth=1
	s_andn2_saveexec_b64 s[4:5], s[4:5]
; %bb.26:                               ;   in Loop: Header=BB30_16 Depth=1
	v_add_f32_e64 v19, |v10|, s13
; %bb.27:                               ;   in Loop: Header=BB30_16 Depth=1
	s_or_b64 exec, exec, s[4:5]
.LBB30_28:                              ;   in Loop: Header=BB30_16 Depth=1
	s_or_b64 exec, exec, s[2:3]
	v_lshrrev_b32_e32 v10, 24, v10
	v_and_or_b32 v10, v10, s14, v19
	global_store_byte v[26:27], v10, off offset:1
	v_mul_f32_e32 v10, v12, v1
	v_mul_f32_e32 v10, v10, v16
	;; [unrolled: 1-line block ×3, first 2 shown]
	v_min_f32_e32 v10, 0x43e00000, v10
	v_max_f32_e32 v11, 0xc3e00000, v10
	v_and_b32_e32 v14, 0x7fffffff, v11
	v_cmp_gt_u32_e32 vcc, s10, v14
	v_mov_b32_e32 v10, 0x7f
	v_mov_b32_e32 v12, 0x7f
	s_and_saveexec_b64 s[2:3], vcc
	s_cbranch_execz .LBB30_34
; %bb.29:                               ;   in Loop: Header=BB30_16 Depth=1
	v_cmp_lt_u32_e32 vcc, s11, v14
                                        ; implicit-def: $vgpr12
	s_and_saveexec_b64 s[4:5], vcc
	s_xor_b64 s[4:5], exec, s[4:5]
; %bb.30:                               ;   in Loop: Header=BB30_16 Depth=1
	v_bfe_u32 v12, v11, 20, 1
	v_add3_u32 v12, v11, v12, s12
	v_lshrrev_b32_e32 v12, 20, v12
; %bb.31:                               ;   in Loop: Header=BB30_16 Depth=1
	s_andn2_saveexec_b64 s[4:5], s[4:5]
; %bb.32:                               ;   in Loop: Header=BB30_16 Depth=1
	v_add_f32_e64 v12, |v11|, s13
; %bb.33:                               ;   in Loop: Header=BB30_16 Depth=1
	s_or_b64 exec, exec, s[4:5]
.LBB30_34:                              ;   in Loop: Header=BB30_16 Depth=1
	s_or_b64 exec, exec, s[2:3]
	v_lshrrev_b32_e32 v11, 24, v11
	v_and_or_b32 v11, v11, s14, v12
	global_store_byte v[26:27], v11, off offset:2
	v_mul_f32_e32 v11, v13, v1
	v_mul_f32_e32 v11, v11, v17
	;; [unrolled: 1-line block ×3, first 2 shown]
	v_min_f32_e32 v11, 0x43e00000, v11
	v_max_f32_e32 v11, 0xc3e00000, v11
	v_and_b32_e32 v12, 0x7fffffff, v11
	v_cmp_gt_u32_e32 vcc, s10, v12
	s_and_saveexec_b64 s[2:3], vcc
	s_cbranch_execz .LBB30_40
; %bb.35:                               ;   in Loop: Header=BB30_16 Depth=1
	v_cmp_lt_u32_e32 vcc, s11, v12
                                        ; implicit-def: $vgpr10
	s_and_saveexec_b64 s[4:5], vcc
	s_xor_b64 s[4:5], exec, s[4:5]
; %bb.36:                               ;   in Loop: Header=BB30_16 Depth=1
	v_bfe_u32 v10, v11, 20, 1
	v_add3_u32 v10, v11, v10, s12
	v_lshrrev_b32_e32 v10, 20, v10
; %bb.37:                               ;   in Loop: Header=BB30_16 Depth=1
	s_andn2_saveexec_b64 s[4:5], s[4:5]
; %bb.38:                               ;   in Loop: Header=BB30_16 Depth=1
	v_add_f32_e64 v10, |v11|, s13
; %bb.39:                               ;   in Loop: Header=BB30_16 Depth=1
	s_or_b64 exec, exec, s[4:5]
.LBB30_40:                              ;   in Loop: Header=BB30_16 Depth=1
	s_or_b64 exec, exec, s[2:3]
	s_waitcnt vmcnt(4)
	v_mul_f32_e32 v2, v2, v1
	s_waitcnt vmcnt(3)
	v_mul_f32_e32 v2, v2, v6
	v_mul_f32_e32 v2, v28, v2
	v_min_f32_e32 v2, 0x43e00000, v2
	v_lshrrev_b32_e32 v11, 24, v11
	v_max_f32_e32 v6, 0xc3e00000, v2
	v_and_or_b32 v10, v11, s14, v10
	v_and_b32_e32 v11, 0x7fffffff, v6
	global_store_byte v[26:27], v10, off offset:3
	v_cmp_gt_u32_e32 vcc, s10, v11
	v_mov_b32_e32 v2, 0x7f
	v_mov_b32_e32 v10, 0x7f
	s_and_saveexec_b64 s[2:3], vcc
	s_cbranch_execz .LBB30_46
; %bb.41:                               ;   in Loop: Header=BB30_16 Depth=1
	v_cmp_lt_u32_e32 vcc, s11, v11
                                        ; implicit-def: $vgpr10
	s_and_saveexec_b64 s[4:5], vcc
	s_xor_b64 s[4:5], exec, s[4:5]
; %bb.42:                               ;   in Loop: Header=BB30_16 Depth=1
	v_bfe_u32 v10, v6, 20, 1
	v_add3_u32 v10, v6, v10, s12
	v_lshrrev_b32_e32 v10, 20, v10
; %bb.43:                               ;   in Loop: Header=BB30_16 Depth=1
	s_andn2_saveexec_b64 s[4:5], s[4:5]
; %bb.44:                               ;   in Loop: Header=BB30_16 Depth=1
	v_add_f32_e64 v10, |v6|, s13
; %bb.45:                               ;   in Loop: Header=BB30_16 Depth=1
	s_or_b64 exec, exec, s[4:5]
.LBB30_46:                              ;   in Loop: Header=BB30_16 Depth=1
	s_or_b64 exec, exec, s[2:3]
	v_mul_f32_e32 v3, v3, v1
	v_mul_f32_e32 v3, v3, v7
	;; [unrolled: 1-line block ×3, first 2 shown]
	v_lshrrev_b32_e32 v6, 24, v6
	v_min_f32_e32 v3, 0x43e00000, v3
	v_and_or_b32 v6, v6, s14, v10
	v_max_f32_e32 v3, 0xc3e00000, v3
	global_store_byte v[26:27], v6, off offset:4
	v_and_b32_e32 v6, 0x7fffffff, v3
	v_cmp_gt_u32_e32 vcc, s10, v6
	s_and_saveexec_b64 s[2:3], vcc
	s_cbranch_execz .LBB30_52
; %bb.47:                               ;   in Loop: Header=BB30_16 Depth=1
	v_cmp_lt_u32_e32 vcc, s11, v6
                                        ; implicit-def: $vgpr2
	s_and_saveexec_b64 s[4:5], vcc
	s_xor_b64 s[4:5], exec, s[4:5]
; %bb.48:                               ;   in Loop: Header=BB30_16 Depth=1
	v_bfe_u32 v2, v3, 20, 1
	v_add3_u32 v2, v3, v2, s12
	v_lshrrev_b32_e32 v2, 20, v2
; %bb.49:                               ;   in Loop: Header=BB30_16 Depth=1
	s_andn2_saveexec_b64 s[4:5], s[4:5]
; %bb.50:                               ;   in Loop: Header=BB30_16 Depth=1
	v_add_f32_e64 v2, |v3|, s13
; %bb.51:                               ;   in Loop: Header=BB30_16 Depth=1
	s_or_b64 exec, exec, s[4:5]
.LBB30_52:                              ;   in Loop: Header=BB30_16 Depth=1
	s_or_b64 exec, exec, s[2:3]
	v_lshrrev_b32_e32 v3, 24, v3
	v_and_or_b32 v2, v3, s14, v2
	global_store_byte v[26:27], v2, off offset:5
	v_mul_f32_e32 v2, v4, v1
	v_mul_f32_e32 v2, v2, v8
	;; [unrolled: 1-line block ×3, first 2 shown]
	v_min_f32_e32 v2, 0x43e00000, v2
	v_max_f32_e32 v3, 0xc3e00000, v2
	v_and_b32_e32 v6, 0x7fffffff, v3
	v_cmp_gt_u32_e32 vcc, s10, v6
	v_mov_b32_e32 v2, 0x7f
	v_mov_b32_e32 v4, 0x7f
	s_and_saveexec_b64 s[2:3], vcc
	s_cbranch_execz .LBB30_58
; %bb.53:                               ;   in Loop: Header=BB30_16 Depth=1
	v_cmp_lt_u32_e32 vcc, s11, v6
                                        ; implicit-def: $vgpr4
	s_and_saveexec_b64 s[4:5], vcc
	s_xor_b64 s[4:5], exec, s[4:5]
; %bb.54:                               ;   in Loop: Header=BB30_16 Depth=1
	v_bfe_u32 v4, v3, 20, 1
	v_add3_u32 v4, v3, v4, s12
	v_lshrrev_b32_e32 v4, 20, v4
; %bb.55:                               ;   in Loop: Header=BB30_16 Depth=1
	s_andn2_saveexec_b64 s[4:5], s[4:5]
; %bb.56:                               ;   in Loop: Header=BB30_16 Depth=1
	v_add_f32_e64 v4, |v3|, s13
; %bb.57:                               ;   in Loop: Header=BB30_16 Depth=1
	s_or_b64 exec, exec, s[4:5]
.LBB30_58:                              ;   in Loop: Header=BB30_16 Depth=1
	s_or_b64 exec, exec, s[2:3]
	v_lshrrev_b32_e32 v3, 24, v3
	v_and_or_b32 v3, v3, s14, v4
	global_store_byte v[26:27], v3, off offset:6
	v_mul_f32_e32 v3, v5, v1
	v_mul_f32_e32 v3, v3, v9
	;; [unrolled: 1-line block ×3, first 2 shown]
	v_min_f32_e32 v3, 0x43e00000, v3
	v_max_f32_e32 v3, 0xc3e00000, v3
	v_and_b32_e32 v4, 0x7fffffff, v3
	v_cmp_gt_u32_e32 vcc, s10, v4
	s_and_saveexec_b64 s[2:3], vcc
	s_cbranch_execz .LBB30_15
; %bb.59:                               ;   in Loop: Header=BB30_16 Depth=1
	v_cmp_lt_u32_e32 vcc, s11, v4
                                        ; implicit-def: $vgpr2
	s_and_saveexec_b64 s[4:5], vcc
	s_xor_b64 s[4:5], exec, s[4:5]
; %bb.60:                               ;   in Loop: Header=BB30_16 Depth=1
	v_bfe_u32 v2, v3, 20, 1
	v_add3_u32 v2, v3, v2, s12
	v_lshrrev_b32_e32 v2, 20, v2
; %bb.61:                               ;   in Loop: Header=BB30_16 Depth=1
	s_andn2_saveexec_b64 s[4:5], s[4:5]
	s_cbranch_execz .LBB30_14
; %bb.62:                               ;   in Loop: Header=BB30_16 Depth=1
	v_add_f32_e64 v2, |v3|, s13
	s_branch .LBB30_14
.LBB30_63:
	s_endpgm
	.section	.rodata,"a",@progbits
	.p2align	6, 0x0
	.amdhsa_kernel _ZN4vllm42fused_add_rms_norm_static_fp8_quant_kernelIfLi8EN3c1013Float8_e4m3fnEEENSt9enable_ifIXaagtT0_Li0Esr12_typeConvertIT_EE6existsEvE4typeEPT1_PS4_iS9_PKS4_PKffii
		.amdhsa_group_segment_fixed_size 68
		.amdhsa_private_segment_fixed_size 0
		.amdhsa_kernarg_size 320
		.amdhsa_user_sgpr_count 2
		.amdhsa_user_sgpr_dispatch_ptr 0
		.amdhsa_user_sgpr_queue_ptr 0
		.amdhsa_user_sgpr_kernarg_segment_ptr 1
		.amdhsa_user_sgpr_dispatch_id 0
		.amdhsa_user_sgpr_kernarg_preload_length 0
		.amdhsa_user_sgpr_kernarg_preload_offset 0
		.amdhsa_user_sgpr_private_segment_size 0
		.amdhsa_uses_dynamic_stack 0
		.amdhsa_enable_private_segment 0
		.amdhsa_system_sgpr_workgroup_id_x 1
		.amdhsa_system_sgpr_workgroup_id_y 0
		.amdhsa_system_sgpr_workgroup_id_z 0
		.amdhsa_system_sgpr_workgroup_info 0
		.amdhsa_system_vgpr_workitem_id 0
		.amdhsa_next_free_vgpr 30
		.amdhsa_next_free_sgpr 21
		.amdhsa_accum_offset 32
		.amdhsa_reserve_vcc 1
		.amdhsa_float_round_mode_32 0
		.amdhsa_float_round_mode_16_64 0
		.amdhsa_float_denorm_mode_32 3
		.amdhsa_float_denorm_mode_16_64 3
		.amdhsa_dx10_clamp 1
		.amdhsa_ieee_mode 1
		.amdhsa_fp16_overflow 0
		.amdhsa_tg_split 0
		.amdhsa_exception_fp_ieee_invalid_op 0
		.amdhsa_exception_fp_denorm_src 0
		.amdhsa_exception_fp_ieee_div_zero 0
		.amdhsa_exception_fp_ieee_overflow 0
		.amdhsa_exception_fp_ieee_underflow 0
		.amdhsa_exception_fp_ieee_inexact 0
		.amdhsa_exception_int_div_zero 0
	.end_amdhsa_kernel
	.section	.text._ZN4vllm42fused_add_rms_norm_static_fp8_quant_kernelIfLi8EN3c1013Float8_e4m3fnEEENSt9enable_ifIXaagtT0_Li0Esr12_typeConvertIT_EE6existsEvE4typeEPT1_PS4_iS9_PKS4_PKffii,"axG",@progbits,_ZN4vllm42fused_add_rms_norm_static_fp8_quant_kernelIfLi8EN3c1013Float8_e4m3fnEEENSt9enable_ifIXaagtT0_Li0Esr12_typeConvertIT_EE6existsEvE4typeEPT1_PS4_iS9_PKS4_PKffii,comdat
.Lfunc_end30:
	.size	_ZN4vllm42fused_add_rms_norm_static_fp8_quant_kernelIfLi8EN3c1013Float8_e4m3fnEEENSt9enable_ifIXaagtT0_Li0Esr12_typeConvertIT_EE6existsEvE4typeEPT1_PS4_iS9_PKS4_PKffii, .Lfunc_end30-_ZN4vllm42fused_add_rms_norm_static_fp8_quant_kernelIfLi8EN3c1013Float8_e4m3fnEEENSt9enable_ifIXaagtT0_Li0Esr12_typeConvertIT_EE6existsEvE4typeEPT1_PS4_iS9_PKS4_PKffii
                                        ; -- End function
	.section	.AMDGPU.csdata,"",@progbits
; Kernel info:
; codeLenInByte = 2700
; NumSgprs: 27
; NumVgprs: 30
; NumAgprs: 0
; TotalNumVgprs: 30
; ScratchSize: 0
; MemoryBound: 1
; FloatMode: 240
; IeeeMode: 1
; LDSByteSize: 68 bytes/workgroup (compile time only)
; SGPRBlocks: 3
; VGPRBlocks: 3
; NumSGPRsForWavesPerEU: 27
; NumVGPRsForWavesPerEU: 30
; AccumOffset: 32
; Occupancy: 8
; WaveLimiterHint : 0
; COMPUTE_PGM_RSRC2:SCRATCH_EN: 0
; COMPUTE_PGM_RSRC2:USER_SGPR: 2
; COMPUTE_PGM_RSRC2:TRAP_HANDLER: 0
; COMPUTE_PGM_RSRC2:TGID_X_EN: 1
; COMPUTE_PGM_RSRC2:TGID_Y_EN: 0
; COMPUTE_PGM_RSRC2:TGID_Z_EN: 0
; COMPUTE_PGM_RSRC2:TIDIG_COMP_CNT: 0
; COMPUTE_PGM_RSRC3_GFX90A:ACCUM_OFFSET: 7
; COMPUTE_PGM_RSRC3_GFX90A:TG_SPLIT: 0
	.section	.text._ZN4vllm42fused_add_rms_norm_static_fp8_quant_kernelIfLi8EN3c1015Float8_e4m3fnuzEEENSt9enable_ifIXaagtT0_Li0Esr12_typeConvertIT_EE6existsEvE4typeEPT1_PS4_iS9_PKS4_PKffii,"axG",@progbits,_ZN4vllm42fused_add_rms_norm_static_fp8_quant_kernelIfLi8EN3c1015Float8_e4m3fnuzEEENSt9enable_ifIXaagtT0_Li0Esr12_typeConvertIT_EE6existsEvE4typeEPT1_PS4_iS9_PKS4_PKffii,comdat
	.protected	_ZN4vllm42fused_add_rms_norm_static_fp8_quant_kernelIfLi8EN3c1015Float8_e4m3fnuzEEENSt9enable_ifIXaagtT0_Li0Esr12_typeConvertIT_EE6existsEvE4typeEPT1_PS4_iS9_PKS4_PKffii ; -- Begin function _ZN4vllm42fused_add_rms_norm_static_fp8_quant_kernelIfLi8EN3c1015Float8_e4m3fnuzEEENSt9enable_ifIXaagtT0_Li0Esr12_typeConvertIT_EE6existsEvE4typeEPT1_PS4_iS9_PKS4_PKffii
	.globl	_ZN4vllm42fused_add_rms_norm_static_fp8_quant_kernelIfLi8EN3c1015Float8_e4m3fnuzEEENSt9enable_ifIXaagtT0_Li0Esr12_typeConvertIT_EE6existsEvE4typeEPT1_PS4_iS9_PKS4_PKffii
	.p2align	8
	.type	_ZN4vllm42fused_add_rms_norm_static_fp8_quant_kernelIfLi8EN3c1015Float8_e4m3fnuzEEENSt9enable_ifIXaagtT0_Li0Esr12_typeConvertIT_EE6existsEvE4typeEPT1_PS4_iS9_PKS4_PKffii,@function
_ZN4vllm42fused_add_rms_norm_static_fp8_quant_kernelIfLi8EN3c1015Float8_e4m3fnuzEEENSt9enable_ifIXaagtT0_Li0Esr12_typeConvertIT_EE6existsEvE4typeEPT1_PS4_iS9_PKS4_PKffii: ; @_ZN4vllm42fused_add_rms_norm_static_fp8_quant_kernelIfLi8EN3c1015Float8_e4m3fnuzEEENSt9enable_ifIXaagtT0_Li0Esr12_typeConvertIT_EE6existsEvE4typeEPT1_PS4_iS9_PKS4_PKffii
; %bb.0:
	s_load_dword s18, s[0:1], 0x38
                                        ; implicit-def: $sgpr10
	s_waitcnt lgkmcnt(0)
	s_ashr_i32 s3, s18, 31
	s_lshr_b32 s3, s3, 29
	s_add_i32 s3, s18, s3
	s_ashr_i32 s20, s3, 3
	v_cmp_gt_i32_e64 s[4:5], s20, v0
	v_cmp_le_i32_e32 vcc, s20, v0
                                        ; implicit-def: $sgpr3
	s_and_saveexec_b64 s[6:7], vcc
	s_xor_b64 s[6:7], exec, s[6:7]
	s_cbranch_execz .LBB31_2
; %bb.1:
	s_load_dword s3, s[0:1], 0x4c
	s_mov_b32 s10, 0
	s_waitcnt lgkmcnt(0)
	s_and_b32 s3, s3, 0xffff
.LBB31_2:
	s_or_saveexec_b64 s[8:9], s[6:7]
	s_load_dwordx2 s[6:7], s[0:1], 0x28
	s_load_dwordx2 s[14:15], s[0:1], 0x18
	v_mov_b32_e32 v1, s10
	v_mov_b32_e32 v6, s3
	s_mul_i32 s21, s20, s2
	s_xor_b64 exec, exec, s[8:9]
	s_cbranch_execz .LBB31_6
; %bb.3:
	s_load_dword s16, s[0:1], 0x10
	s_load_dword s3, s[0:1], 0x4c
	s_load_dwordx2 s[10:11], s[0:1], 0x8
	s_mov_b64 s[12:13], 0
	v_mov_b32_e32 v1, 0
	s_waitcnt lgkmcnt(0)
	s_ashr_i32 s17, s16, 31
	s_lshr_b32 s17, s17, 29
	s_add_i32 s16, s16, s17
	s_ashr_i32 s16, s16, 3
	s_and_b32 s3, s3, 0xffff
	s_mul_i32 s2, s16, s2
	v_mov_b32_e32 v2, v0
.LBB31_4:                               ; =>This Inner Loop Header: Depth=1
	v_add_u32_e32 v4, s2, v2
	v_add_u32_e32 v6, s21, v2
	v_ashrrev_i32_e32 v5, 31, v4
	v_ashrrev_i32_e32 v7, 31, v6
	v_lshlrev_b64 v[4:5], 5, v[4:5]
	v_lshlrev_b64 v[6:7], 5, v[6:7]
	v_lshl_add_u64 v[20:21], s[10:11], 0, v[4:5]
	v_lshl_add_u64 v[22:23], s[14:15], 0, v[6:7]
	global_load_dwordx4 v[4:7], v[20:21], off
	global_load_dwordx4 v[8:11], v[22:23], off
	global_load_dwordx4 v[12:15], v[20:21], off offset:16
	global_load_dwordx4 v[16:19], v[22:23], off offset:16
	v_add_u32_e32 v2, s3, v2
	v_cmp_le_i32_e32 vcc, s20, v2
	s_or_b64 s[12:13], vcc, s[12:13]
	s_waitcnt vmcnt(3)
	v_mov_b32_e32 v21, v6
	s_waitcnt vmcnt(2)
	v_mov_b32_e32 v25, v10
	v_mov_b32_e32 v6, v5
	;; [unrolled: 1-line block ×5, first 2 shown]
	s_waitcnt vmcnt(1)
	v_mov_b32_e32 v5, v14
	s_waitcnt vmcnt(0)
	v_mov_b32_e32 v9, v18
	v_mov_b32_e32 v14, v13
	;; [unrolled: 1-line block ×3, first 2 shown]
	v_pk_add_f32 v[6:7], v[6:7], v[10:11]
	v_mov_b32_e32 v4, v12
	v_mov_b32_e32 v8, v16
	v_pk_add_f32 v[12:13], v[20:21], v[24:25]
	v_pk_add_f32 v[10:11], v[14:15], v[18:19]
	v_pk_mul_f32 v[14:15], v[6:7], v[6:7]
	v_pk_add_f32 v[16:17], v[4:5], v[8:9]
	v_pk_mul_f32 v[18:19], v[10:11], v[10:11]
	v_mov_b32_e32 v4, v12
	v_mov_b32_e32 v5, v6
	;; [unrolled: 1-line block ×3, first 2 shown]
	v_pk_fma_f32 v[12:13], v[12:13], v[12:13], v[14:15]
	v_pk_fma_f32 v[14:15], v[16:17], v[16:17], v[18:19]
	v_add_f32_e32 v3, v12, v13
	v_add_f32_e32 v3, v3, v14
	;; [unrolled: 1-line block ×4, first 2 shown]
	v_mov_b32_e32 v8, v16
	v_mov_b32_e32 v9, v10
	;; [unrolled: 1-line block ×3, first 2 shown]
	global_store_dwordx4 v[22:23], v[4:7], off
	global_store_dwordx4 v[22:23], v[8:11], off offset:16
	s_andn2_b64 exec, exec, s[12:13]
	s_cbranch_execnz .LBB31_4
; %bb.5:
	s_or_b64 exec, exec, s[12:13]
	v_mov_b32_e32 v6, s3
.LBB31_6:
	s_or_b64 exec, exec, s[8:9]
	v_mbcnt_lo_u32_b32 v2, -1, 0
	v_mbcnt_hi_u32_b32 v2, -1, v2
	v_and_b32_e32 v3, 63, v2
	v_cmp_ne_u32_e32 vcc, 63, v3
	v_and_b32_e32 v5, 0x3c0, v0
	v_sub_u32_e64 v5, v6, v5 clamp
	v_addc_co_u32_e32 v4, vcc, 0, v2, vcc
	v_lshlrev_b32_e32 v4, 2, v4
	ds_bpermute_b32 v4, v4, v1
	v_add_u32_e32 v7, 1, v2
	v_cmp_lt_u32_e32 vcc, v7, v5
	v_add_u32_e32 v7, 2, v2
	s_load_dwordx2 s[16:17], s[0:1], 0x0
	s_load_dwordx2 s[8:9], s[0:1], 0x20
	s_waitcnt lgkmcnt(0)
	v_add_f32_e32 v4, v1, v4
	v_cndmask_b32_e32 v1, v1, v4, vcc
	v_cmp_gt_u32_e32 vcc, 62, v3
	s_nop 1
	v_cndmask_b32_e64 v4, 0, 1, vcc
	v_lshlrev_b32_e32 v4, 1, v4
	v_add_lshl_u32 v4, v4, v2, 2
	ds_bpermute_b32 v4, v4, v1
	v_cmp_lt_u32_e32 vcc, v7, v5
	v_add_u32_e32 v7, 4, v2
	s_waitcnt lgkmcnt(0)
	v_add_f32_e32 v4, v1, v4
	v_cndmask_b32_e32 v1, v1, v4, vcc
	v_cmp_gt_u32_e32 vcc, 60, v3
	s_nop 1
	v_cndmask_b32_e64 v4, 0, 1, vcc
	v_lshlrev_b32_e32 v4, 2, v4
	v_add_lshl_u32 v4, v4, v2, 2
	ds_bpermute_b32 v4, v4, v1
	v_cmp_lt_u32_e32 vcc, v7, v5
	v_add_u32_e32 v7, 8, v2
	;; [unrolled: 11-line block ×3, first 2 shown]
	s_waitcnt lgkmcnt(0)
	v_add_f32_e32 v4, v1, v4
	v_cndmask_b32_e32 v1, v1, v4, vcc
	v_cmp_gt_u32_e32 vcc, 48, v3
	s_nop 1
	v_cndmask_b32_e64 v4, 0, 1, vcc
	v_lshlrev_b32_e32 v4, 4, v4
	v_add_lshl_u32 v4, v4, v2, 2
	ds_bpermute_b32 v4, v4, v1
	v_cmp_lt_u32_e32 vcc, v7, v5
	s_waitcnt lgkmcnt(0)
	v_add_f32_e32 v4, v1, v4
	v_cndmask_b32_e32 v1, v1, v4, vcc
	v_cmp_gt_u32_e32 vcc, 32, v3
	v_add_u32_e32 v4, 32, v2
	s_nop 0
	v_cndmask_b32_e64 v3, 0, 1, vcc
	v_lshlrev_b32_e32 v3, 5, v3
	v_add_lshl_u32 v3, v3, v2, 2
	ds_bpermute_b32 v3, v3, v1
	v_cmp_lt_u32_e32 vcc, v4, v5
	s_waitcnt lgkmcnt(0)
	v_add_f32_e32 v3, v1, v3
	v_cndmask_b32_e32 v1, v1, v3, vcc
	v_cmp_eq_u32_e32 vcc, 0, v2
	s_and_saveexec_b64 s[2:3], vcc
	s_cbranch_execz .LBB31_8
; %bb.7:
	v_lshrrev_b32_e32 v3, 4, v0
	v_and_b32_e32 v3, 60, v3
	ds_write_b32 v3, v1
.LBB31_8:
	s_or_b64 exec, exec, s[2:3]
	v_cmp_gt_u32_e32 vcc, 16, v0
	s_waitcnt lgkmcnt(0)
	s_barrier
	s_and_saveexec_b64 s[10:11], vcc
	s_cbranch_execz .LBB31_10
; %bb.9:
	v_lshlrev_b32_e32 v1, 2, v2
	ds_read_b32 v1, v1
	v_and_b32_e32 v3, 15, v2
	v_cmp_ne_u32_e32 vcc, 15, v3
	v_add_u32_e32 v5, 63, v6
	v_lshrrev_b32_e32 v5, 6, v5
	v_addc_co_u32_e32 v4, vcc, 0, v2, vcc
	v_lshlrev_b32_e32 v4, 2, v4
	s_waitcnt lgkmcnt(0)
	ds_bpermute_b32 v4, v4, v1
	v_add_u32_e32 v7, 1, v3
	v_cmp_gt_u32_e64 s[2:3], 14, v3
	v_cmp_lt_u32_e32 vcc, v7, v5
	v_add_u32_e32 v8, 2, v3
	v_cndmask_b32_e64 v7, 0, 1, s[2:3]
	s_waitcnt lgkmcnt(0)
	v_add_f32_e32 v4, v1, v4
	v_lshlrev_b32_e32 v7, 1, v7
	v_cndmask_b32_e32 v4, v1, v4, vcc
	v_add_lshl_u32 v7, v7, v2, 2
	ds_bpermute_b32 v7, v7, v4
	v_cmp_lt_u32_e64 s[2:3], v8, v5
	v_add_u32_e32 v8, 4, v3
	s_waitcnt lgkmcnt(0)
	v_add_f32_e32 v7, v4, v7
	v_cndmask_b32_e64 v4, v4, v7, s[2:3]
	v_cmp_gt_u32_e64 s[2:3], 12, v3
	s_nop 1
	v_cndmask_b32_e64 v7, 0, 1, s[2:3]
	v_lshlrev_b32_e32 v7, 2, v7
	v_add_lshl_u32 v7, v7, v2, 2
	ds_bpermute_b32 v7, v7, v4
	v_cmp_lt_u32_e64 s[2:3], v8, v5
	s_waitcnt lgkmcnt(0)
	v_add_f32_e32 v7, v4, v7
	v_cndmask_b32_e64 v4, v4, v7, s[2:3]
	v_cmp_gt_u32_e64 s[2:3], 8, v3
	v_add_u32_e32 v3, 8, v3
	s_nop 0
	v_cndmask_b32_e64 v7, 0, 1, s[2:3]
	v_lshlrev_b32_e32 v7, 3, v7
	v_add_lshl_u32 v2, v7, v2, 2
	ds_bpermute_b32 v2, v2, v4
	v_cmp_lt_u32_e64 s[2:3], v3, v5
	s_waitcnt lgkmcnt(0)
	v_add_f32_e32 v2, v4, v2
	v_cndmask_b32_e64 v2, v4, v2, s[2:3]
	v_cndmask_b32_e32 v1, v1, v2, vcc
.LBB31_10:
	s_or_b64 exec, exec, s[10:11]
	v_cmp_eq_u32_e32 vcc, 0, v0
	s_and_saveexec_b64 s[2:3], vcc
	s_cbranch_execz .LBB31_12
; %bb.11:
	v_cvt_f32_i32_e32 v2, s18
	s_load_dword s10, s[0:1], 0x30
	v_div_scale_f32 v3, s[0:1], v2, v2, v1
	v_rcp_f32_e32 v4, v3
	v_div_scale_f32 v5, vcc, v1, v2, v1
	s_mov_b32 s0, 0x800000
	v_fma_f32 v7, -v3, v4, 1.0
	v_fmac_f32_e32 v4, v7, v4
	v_mul_f32_e32 v7, v5, v4
	v_fma_f32 v8, -v3, v7, v5
	v_fmac_f32_e32 v7, v8, v4
	v_fma_f32 v3, -v3, v7, v5
	v_div_fmas_f32 v3, v3, v4, v7
	v_div_fixup_f32 v1, v3, v2, v1
	s_waitcnt lgkmcnt(0)
	v_add_f32_e32 v1, s10, v1
	v_mul_f32_e32 v2, 0x4b800000, v1
	v_cmp_gt_f32_e32 vcc, s0, v1
	s_nop 1
	v_cndmask_b32_e32 v1, v1, v2, vcc
	v_rsq_f32_e32 v1, v1
	s_nop 0
	v_mul_f32_e32 v2, 0x45800000, v1
	v_cndmask_b32_e32 v1, v1, v2, vcc
	v_mov_b32_e32 v2, 0
	ds_write_b32 v2, v1 offset:64
.LBB31_12:
	s_or_b64 exec, exec, s[2:3]
	s_waitcnt lgkmcnt(0)
	s_barrier
	s_and_saveexec_b64 s[0:1], s[4:5]
	s_cbranch_execz .LBB31_15
; %bb.13:
	s_load_dword s2, s[6:7], 0x0
	v_mov_b32_e32 v3, 0
	ds_read_b32 v1, v3 offset:64
	v_add_lshl_u32 v8, v0, s21, 3
	v_lshlrev_b32_e32 v15, 3, v6
	s_waitcnt lgkmcnt(0)
	v_div_scale_f32 v2, s[0:1], s2, s2, 1.0
	v_rcp_f32_e32 v4, v2
	v_div_scale_f32 v5, vcc, 1.0, s2, 1.0
	s_mov_b64 s[18:19], 0
	v_fma_f32 v7, -v2, v4, 1.0
	v_fmac_f32_e32 v4, v7, v4
	v_mul_f32_e32 v7, v5, v4
	v_fma_f32 v9, -v2, v7, v5
	v_fmac_f32_e32 v7, v9, v4
	v_fma_f32 v2, -v2, v7, v5
	v_div_fmas_f32 v2, v2, v4, v7
	v_div_fixup_f32 v14, v2, s2, 1.0
	v_lshlrev_b32_e32 v2, 5, v0
	v_lshl_add_u64 v[4:5], v[2:3], 0, s[8:9]
	v_mov_b32_e32 v7, v3
	v_lshl_add_u64 v[10:11], v[4:5], 0, 28
	v_lshlrev_b64 v[12:13], 5, v[6:7]
	s_mov_b32 s22, 0x7f800000
	s_mov_b32 s23, 0x43700000
	v_mov_b32_e32 v7, 0xc3700000
.LBB31_14:                              ; =>This Inner Loop Header: Depth=1
	v_add_u32_e32 v20, s21, v0
	v_ashrrev_i32_e32 v21, 31, v20
	v_lshlrev_b64 v[20:21], 5, v[20:21]
	v_lshl_add_u64 v[28:29], s[14:15], 0, v[20:21]
	global_load_dwordx4 v[2:5], v[10:11], off offset:-12
	global_load_dwordx4 v[16:19], v[10:11], off offset:-28
	global_load_dwordx4 v[20:23], v[28:29], off
	global_load_dwordx4 v[24:27], v[28:29], off offset:16
	v_ashrrev_i32_e32 v9, 31, v8
	v_lshl_add_u64 v[28:29], s[16:17], 0, v[8:9]
	v_add_u32_e32 v0, v0, v6
	v_cmp_le_i32_e32 vcc, s20, v0
	s_or_b64 s[18:19], vcc, s[18:19]
	v_mov_b32_e32 v31, 0
	v_mov_b32_e32 v33, 0
	v_mov_b32_e32 v35, 0
	v_mov_b32_e32 v37, 0
	v_mov_b32_e32 v30, 0
	v_mov_b32_e32 v32, 0
	v_mov_b32_e32 v34, 0
	v_mov_b32_e32 v36, 0
	v_lshl_add_u64 v[10:11], v[10:11], 0, v[12:13]
	v_add_u32_e32 v8, v8, v15
	s_waitcnt vmcnt(1)
	v_mul_f32_e32 v9, v20, v1
	v_mul_f32_e32 v20, v21, v1
	;; [unrolled: 1-line block ×4, first 2 shown]
	s_waitcnt vmcnt(0)
	v_mul_f32_e32 v23, v24, v1
	v_mul_f32_e32 v24, v25, v1
	;; [unrolled: 1-line block ×20, first 2 shown]
	v_min_f32_e32 v16, 0x43600000, v16
	v_min_f32_e32 v18, 0x43600000, v18
	;; [unrolled: 1-line block ×8, first 2 shown]
	v_max_f32_e32 v16, 0xc3600000, v16
	v_max_f32_e32 v18, 0xc3600000, v18
	;; [unrolled: 1-line block ×8, first 2 shown]
	v_med3_f32 v20, v16, s23, v7
	v_cmp_nlg_f32_e64 vcc, |v16|, s22
	v_med3_f32 v22, v18, s23, v7
	v_cmp_nlg_f32_e64 s[2:3], |v18|, s22
	v_med3_f32 v24, v3, s23, v7
	v_cmp_nlg_f32_e64 s[6:7], |v3|, s22
	;; [unrolled: 2-line block ×3, first 2 shown]
	v_med3_f32 v19, v9, s23, v7
	v_med3_f32 v21, v17, s23, v7
	v_cmp_nlg_f32_e64 s[0:1], |v17|, s22
	v_med3_f32 v23, v2, s23, v7
	v_cmp_nlg_f32_e64 s[4:5], |v2|, s22
	;; [unrolled: 2-line block ×3, first 2 shown]
	v_cmp_nlg_f32_e64 s[12:13], |v9|, s22
	v_cndmask_b32_e32 v16, v20, v16, vcc
	v_cndmask_b32_e64 v18, v22, v18, s[2:3]
	v_cndmask_b32_e64 v3, v24, v3, s[6:7]
	;; [unrolled: 1-line block ×7, first 2 shown]
	v_cvt_pk_fp8_f32 v31, v16, v16
	v_cvt_pk_fp8_f32 v33, v18, v18
	;; [unrolled: 1-line block ×8, first 2 shown]
	v_lshlrev_b16_e32 v2, 8, v35
	v_lshlrev_b16_e32 v3, 8, v37
	;; [unrolled: 1-line block ×4, first 2 shown]
	v_or_b32_sdwa v2, v34, v2 dst_sel:DWORD dst_unused:UNUSED_PAD src0_sel:BYTE_0 src1_sel:DWORD
	v_or_b32_sdwa v3, v36, v3 dst_sel:WORD_1 dst_unused:UNUSED_PAD src0_sel:BYTE_0 src1_sel:DWORD
	v_or_b32_sdwa v4, v30, v4 dst_sel:DWORD dst_unused:UNUSED_PAD src0_sel:BYTE_0 src1_sel:DWORD
	v_or_b32_sdwa v5, v32, v5 dst_sel:WORD_1 dst_unused:UNUSED_PAD src0_sel:BYTE_0 src1_sel:DWORD
	v_or_b32_sdwa v3, v2, v3 dst_sel:DWORD dst_unused:UNUSED_PAD src0_sel:WORD_0 src1_sel:DWORD
	v_or_b32_sdwa v2, v4, v5 dst_sel:DWORD dst_unused:UNUSED_PAD src0_sel:WORD_0 src1_sel:DWORD
	global_store_dwordx2 v[28:29], v[2:3], off
	s_andn2_b64 exec, exec, s[18:19]
	s_cbranch_execnz .LBB31_14
.LBB31_15:
	s_endpgm
	.section	.rodata,"a",@progbits
	.p2align	6, 0x0
	.amdhsa_kernel _ZN4vllm42fused_add_rms_norm_static_fp8_quant_kernelIfLi8EN3c1015Float8_e4m3fnuzEEENSt9enable_ifIXaagtT0_Li0Esr12_typeConvertIT_EE6existsEvE4typeEPT1_PS4_iS9_PKS4_PKffii
		.amdhsa_group_segment_fixed_size 68
		.amdhsa_private_segment_fixed_size 0
		.amdhsa_kernarg_size 320
		.amdhsa_user_sgpr_count 2
		.amdhsa_user_sgpr_dispatch_ptr 0
		.amdhsa_user_sgpr_queue_ptr 0
		.amdhsa_user_sgpr_kernarg_segment_ptr 1
		.amdhsa_user_sgpr_dispatch_id 0
		.amdhsa_user_sgpr_kernarg_preload_length 0
		.amdhsa_user_sgpr_kernarg_preload_offset 0
		.amdhsa_user_sgpr_private_segment_size 0
		.amdhsa_uses_dynamic_stack 0
		.amdhsa_enable_private_segment 0
		.amdhsa_system_sgpr_workgroup_id_x 1
		.amdhsa_system_sgpr_workgroup_id_y 0
		.amdhsa_system_sgpr_workgroup_id_z 0
		.amdhsa_system_sgpr_workgroup_info 0
		.amdhsa_system_vgpr_workitem_id 0
		.amdhsa_next_free_vgpr 38
		.amdhsa_next_free_sgpr 24
		.amdhsa_accum_offset 40
		.amdhsa_reserve_vcc 1
		.amdhsa_float_round_mode_32 0
		.amdhsa_float_round_mode_16_64 0
		.amdhsa_float_denorm_mode_32 3
		.amdhsa_float_denorm_mode_16_64 3
		.amdhsa_dx10_clamp 1
		.amdhsa_ieee_mode 1
		.amdhsa_fp16_overflow 0
		.amdhsa_tg_split 0
		.amdhsa_exception_fp_ieee_invalid_op 0
		.amdhsa_exception_fp_denorm_src 0
		.amdhsa_exception_fp_ieee_div_zero 0
		.amdhsa_exception_fp_ieee_overflow 0
		.amdhsa_exception_fp_ieee_underflow 0
		.amdhsa_exception_fp_ieee_inexact 0
		.amdhsa_exception_int_div_zero 0
	.end_amdhsa_kernel
	.section	.text._ZN4vllm42fused_add_rms_norm_static_fp8_quant_kernelIfLi8EN3c1015Float8_e4m3fnuzEEENSt9enable_ifIXaagtT0_Li0Esr12_typeConvertIT_EE6existsEvE4typeEPT1_PS4_iS9_PKS4_PKffii,"axG",@progbits,_ZN4vllm42fused_add_rms_norm_static_fp8_quant_kernelIfLi8EN3c1015Float8_e4m3fnuzEEENSt9enable_ifIXaagtT0_Li0Esr12_typeConvertIT_EE6existsEvE4typeEPT1_PS4_iS9_PKS4_PKffii,comdat
.Lfunc_end31:
	.size	_ZN4vllm42fused_add_rms_norm_static_fp8_quant_kernelIfLi8EN3c1015Float8_e4m3fnuzEEENSt9enable_ifIXaagtT0_Li0Esr12_typeConvertIT_EE6existsEvE4typeEPT1_PS4_iS9_PKS4_PKffii, .Lfunc_end31-_ZN4vllm42fused_add_rms_norm_static_fp8_quant_kernelIfLi8EN3c1015Float8_e4m3fnuzEEENSt9enable_ifIXaagtT0_Li0Esr12_typeConvertIT_EE6existsEvE4typeEPT1_PS4_iS9_PKS4_PKffii
                                        ; -- End function
	.section	.AMDGPU.csdata,"",@progbits
; Kernel info:
; codeLenInByte = 2224
; NumSgprs: 30
; NumVgprs: 38
; NumAgprs: 0
; TotalNumVgprs: 38
; ScratchSize: 0
; MemoryBound: 0
; FloatMode: 240
; IeeeMode: 1
; LDSByteSize: 68 bytes/workgroup (compile time only)
; SGPRBlocks: 3
; VGPRBlocks: 4
; NumSGPRsForWavesPerEU: 30
; NumVGPRsForWavesPerEU: 38
; AccumOffset: 40
; Occupancy: 8
; WaveLimiterHint : 0
; COMPUTE_PGM_RSRC2:SCRATCH_EN: 0
; COMPUTE_PGM_RSRC2:USER_SGPR: 2
; COMPUTE_PGM_RSRC2:TRAP_HANDLER: 0
; COMPUTE_PGM_RSRC2:TGID_X_EN: 1
; COMPUTE_PGM_RSRC2:TGID_Y_EN: 0
; COMPUTE_PGM_RSRC2:TGID_Z_EN: 0
; COMPUTE_PGM_RSRC2:TIDIG_COMP_CNT: 0
; COMPUTE_PGM_RSRC3_GFX90A:ACCUM_OFFSET: 9
; COMPUTE_PGM_RSRC3_GFX90A:TG_SPLIT: 0
	.section	.text._ZN4vllm42fused_add_rms_norm_static_fp8_quant_kernelIN3c104HalfELi8ENS1_13Float8_e4m3fnEEENSt9enable_ifIXaagtT0_Li0Esr12_typeConvertIT_EE6existsEvE4typeEPT1_PS5_iSA_PKS5_PKffii,"axG",@progbits,_ZN4vllm42fused_add_rms_norm_static_fp8_quant_kernelIN3c104HalfELi8ENS1_13Float8_e4m3fnEEENSt9enable_ifIXaagtT0_Li0Esr12_typeConvertIT_EE6existsEvE4typeEPT1_PS5_iSA_PKS5_PKffii,comdat
	.protected	_ZN4vllm42fused_add_rms_norm_static_fp8_quant_kernelIN3c104HalfELi8ENS1_13Float8_e4m3fnEEENSt9enable_ifIXaagtT0_Li0Esr12_typeConvertIT_EE6existsEvE4typeEPT1_PS5_iSA_PKS5_PKffii ; -- Begin function _ZN4vllm42fused_add_rms_norm_static_fp8_quant_kernelIN3c104HalfELi8ENS1_13Float8_e4m3fnEEENSt9enable_ifIXaagtT0_Li0Esr12_typeConvertIT_EE6existsEvE4typeEPT1_PS5_iSA_PKS5_PKffii
	.globl	_ZN4vllm42fused_add_rms_norm_static_fp8_quant_kernelIN3c104HalfELi8ENS1_13Float8_e4m3fnEEENSt9enable_ifIXaagtT0_Li0Esr12_typeConvertIT_EE6existsEvE4typeEPT1_PS5_iSA_PKS5_PKffii
	.p2align	8
	.type	_ZN4vllm42fused_add_rms_norm_static_fp8_quant_kernelIN3c104HalfELi8ENS1_13Float8_e4m3fnEEENSt9enable_ifIXaagtT0_Li0Esr12_typeConvertIT_EE6existsEvE4typeEPT1_PS5_iSA_PKS5_PKffii,@function
_ZN4vllm42fused_add_rms_norm_static_fp8_quant_kernelIN3c104HalfELi8ENS1_13Float8_e4m3fnEEENSt9enable_ifIXaagtT0_Li0Esr12_typeConvertIT_EE6existsEvE4typeEPT1_PS5_iSA_PKS5_PKffii: ; @_ZN4vllm42fused_add_rms_norm_static_fp8_quant_kernelIN3c104HalfELi8ENS1_13Float8_e4m3fnEEENSt9enable_ifIXaagtT0_Li0Esr12_typeConvertIT_EE6existsEvE4typeEPT1_PS5_iSA_PKS5_PKffii
; %bb.0:
	s_load_dword s18, s[0:1], 0x38
	s_load_dwordx2 s[6:7], s[0:1], 0x18
                                        ; implicit-def: $sgpr12
	s_waitcnt lgkmcnt(0)
	s_ashr_i32 s3, s18, 31
	s_lshr_b32 s3, s3, 29
	s_add_i32 s3, s18, s3
	s_ashr_i32 s16, s3, 3
	v_cmp_gt_i32_e64 s[4:5], s16, v0
	v_cmp_le_i32_e32 vcc, s16, v0
                                        ; implicit-def: $sgpr3
	s_and_saveexec_b64 s[8:9], vcc
	s_xor_b64 s[8:9], exec, s[8:9]
	s_cbranch_execz .LBB32_2
; %bb.1:
	s_load_dword s3, s[0:1], 0x4c
	s_mov_b32 s12, 0
	s_waitcnt lgkmcnt(0)
	s_and_b32 s3, s3, 0xffff
.LBB32_2:
	s_or_saveexec_b64 s[8:9], s[8:9]
	s_load_dwordx2 s[10:11], s[0:1], 0x28
	v_mov_b32_e32 v2, s12
	v_mov_b32_e32 v10, s3
	s_mul_i32 s17, s16, s2
	s_xor_b64 exec, exec, s[8:9]
	s_cbranch_execz .LBB32_6
; %bb.3:
	s_load_dword s19, s[0:1], 0x10
	s_load_dword s3, s[0:1], 0x4c
	s_load_dwordx2 s[12:13], s[0:1], 0x8
	s_mov_b64 s[14:15], 0
	v_mov_b32_e32 v2, 0
	s_waitcnt lgkmcnt(0)
	s_ashr_i32 s20, s19, 31
	s_lshr_b32 s20, s20, 29
	s_add_i32 s19, s19, s20
	s_ashr_i32 s19, s19, 3
	s_and_b32 s3, s3, 0xffff
	s_mul_i32 s2, s19, s2
	v_mov_b32_e32 v1, v0
.LBB32_4:                               ; =>This Inner Loop Header: Depth=1
	v_add_u32_e32 v4, s2, v1
	v_add_u32_e32 v6, s17, v1
	v_ashrrev_i32_e32 v5, 31, v4
	v_ashrrev_i32_e32 v7, 31, v6
	v_lshl_add_u64 v[12:13], v[4:5], 4, s[12:13]
	v_lshl_add_u64 v[14:15], v[6:7], 4, s[6:7]
	global_load_dwordx4 v[4:7], v[12:13], off
	global_load_dwordx4 v[8:11], v[14:15], off
	v_add_u32_e32 v1, s3, v1
	v_cmp_le_i32_e32 vcc, s16, v1
	s_or_b64 s[14:15], vcc, s[14:15]
	s_waitcnt vmcnt(0)
	v_pk_add_f16 v4, v4, v8
	v_pk_add_f16 v5, v5, v9
	;; [unrolled: 1-line block ×3, first 2 shown]
	v_cvt_f32_f16_sdwa v3, v4 dst_sel:DWORD dst_unused:UNUSED_PAD src0_sel:WORD_1
	v_cvt_f32_f16_sdwa v8, v5 dst_sel:DWORD dst_unused:UNUSED_PAD src0_sel:WORD_1
	v_pk_add_f16 v7, v7, v11
	v_cvt_f32_f16_sdwa v9, v6 dst_sel:DWORD dst_unused:UNUSED_PAD src0_sel:WORD_1
	v_cvt_f32_f16_sdwa v10, v7 dst_sel:DWORD dst_unused:UNUSED_PAD src0_sel:WORD_1
	v_mul_f32_e32 v3, v3, v3
	v_mul_f32_e32 v8, v8, v8
	global_store_dwordx4 v[14:15], v[4:7], off
	v_mul_f32_e32 v9, v9, v9
	v_fma_mix_f32 v3, v4, v4, v3 op_sel_hi:[1,1,0]
	v_fma_mix_f32 v4, v5, v5, v8 op_sel_hi:[1,1,0]
	v_mul_f32_e32 v10, v10, v10
	v_fma_mix_f32 v5, v6, v6, v9 op_sel_hi:[1,1,0]
	v_add_f32_e32 v3, v3, v4
	v_fma_mix_f32 v6, v7, v7, v10 op_sel_hi:[1,1,0]
	v_add_f32_e32 v3, v3, v5
	v_add_f32_e32 v3, v3, v6
	;; [unrolled: 1-line block ×3, first 2 shown]
	s_andn2_b64 exec, exec, s[14:15]
	s_cbranch_execnz .LBB32_4
; %bb.5:
	s_or_b64 exec, exec, s[14:15]
	v_mov_b32_e32 v10, s3
.LBB32_6:
	s_or_b64 exec, exec, s[8:9]
	v_mbcnt_lo_u32_b32 v1, -1, 0
	v_mbcnt_hi_u32_b32 v1, -1, v1
	v_and_b32_e32 v3, 63, v1
	v_cmp_ne_u32_e32 vcc, 63, v3
	v_and_b32_e32 v5, 0x3c0, v0
	v_sub_u32_e64 v5, v10, v5 clamp
	v_addc_co_u32_e32 v4, vcc, 0, v1, vcc
	v_lshlrev_b32_e32 v4, 2, v4
	ds_bpermute_b32 v4, v4, v2
	v_add_u32_e32 v6, 1, v1
	v_cmp_lt_u32_e32 vcc, v6, v5
	v_add_u32_e32 v6, 2, v1
	s_load_dwordx2 s[8:9], s[0:1], 0x0
	s_load_dwordx2 s[12:13], s[0:1], 0x20
	s_waitcnt lgkmcnt(0)
	v_add_f32_e32 v4, v2, v4
	v_cndmask_b32_e32 v2, v2, v4, vcc
	v_cmp_gt_u32_e32 vcc, 62, v3
	s_nop 1
	v_cndmask_b32_e64 v4, 0, 1, vcc
	v_lshlrev_b32_e32 v4, 1, v4
	v_add_lshl_u32 v4, v4, v1, 2
	ds_bpermute_b32 v4, v4, v2
	v_cmp_lt_u32_e32 vcc, v6, v5
	v_add_u32_e32 v6, 4, v1
	s_waitcnt lgkmcnt(0)
	v_add_f32_e32 v4, v2, v4
	v_cndmask_b32_e32 v2, v2, v4, vcc
	v_cmp_gt_u32_e32 vcc, 60, v3
	s_nop 1
	v_cndmask_b32_e64 v4, 0, 1, vcc
	v_lshlrev_b32_e32 v4, 2, v4
	v_add_lshl_u32 v4, v4, v1, 2
	ds_bpermute_b32 v4, v4, v2
	v_cmp_lt_u32_e32 vcc, v6, v5
	v_add_u32_e32 v6, 8, v1
	;; [unrolled: 11-line block ×3, first 2 shown]
	s_waitcnt lgkmcnt(0)
	v_add_f32_e32 v4, v2, v4
	v_cndmask_b32_e32 v2, v2, v4, vcc
	v_cmp_gt_u32_e32 vcc, 48, v3
	s_nop 1
	v_cndmask_b32_e64 v4, 0, 1, vcc
	v_lshlrev_b32_e32 v4, 4, v4
	v_add_lshl_u32 v4, v4, v1, 2
	ds_bpermute_b32 v4, v4, v2
	v_cmp_lt_u32_e32 vcc, v6, v5
	s_waitcnt lgkmcnt(0)
	v_add_f32_e32 v4, v2, v4
	v_cndmask_b32_e32 v2, v2, v4, vcc
	v_cmp_gt_u32_e32 vcc, 32, v3
	v_add_u32_e32 v4, 32, v1
	s_nop 0
	v_cndmask_b32_e64 v3, 0, 1, vcc
	v_lshlrev_b32_e32 v3, 5, v3
	v_add_lshl_u32 v3, v3, v1, 2
	ds_bpermute_b32 v3, v3, v2
	v_cmp_lt_u32_e32 vcc, v4, v5
	s_waitcnt lgkmcnt(0)
	v_add_f32_e32 v3, v2, v3
	v_cndmask_b32_e32 v2, v2, v3, vcc
	v_cmp_eq_u32_e32 vcc, 0, v1
	s_and_saveexec_b64 s[2:3], vcc
	s_cbranch_execz .LBB32_8
; %bb.7:
	v_lshrrev_b32_e32 v3, 4, v0
	v_and_b32_e32 v3, 60, v3
	ds_write_b32 v3, v2
.LBB32_8:
	s_or_b64 exec, exec, s[2:3]
	v_cmp_gt_u32_e32 vcc, 16, v0
	s_waitcnt lgkmcnt(0)
	s_barrier
	s_and_saveexec_b64 s[14:15], vcc
	s_cbranch_execz .LBB32_10
; %bb.9:
	v_lshlrev_b32_e32 v2, 2, v1
	ds_read_b32 v2, v2
	v_and_b32_e32 v3, 15, v1
	v_cmp_ne_u32_e32 vcc, 15, v3
	v_add_u32_e32 v5, 63, v10
	v_lshrrev_b32_e32 v5, 6, v5
	v_addc_co_u32_e32 v4, vcc, 0, v1, vcc
	v_lshlrev_b32_e32 v4, 2, v4
	s_waitcnt lgkmcnt(0)
	ds_bpermute_b32 v4, v4, v2
	v_add_u32_e32 v6, 1, v3
	v_cmp_gt_u32_e64 s[2:3], 14, v3
	v_cmp_lt_u32_e32 vcc, v6, v5
	v_add_u32_e32 v7, 2, v3
	v_cndmask_b32_e64 v6, 0, 1, s[2:3]
	s_waitcnt lgkmcnt(0)
	v_add_f32_e32 v4, v2, v4
	v_lshlrev_b32_e32 v6, 1, v6
	v_cndmask_b32_e32 v4, v2, v4, vcc
	v_add_lshl_u32 v6, v6, v1, 2
	ds_bpermute_b32 v6, v6, v4
	v_cmp_lt_u32_e64 s[2:3], v7, v5
	v_add_u32_e32 v7, 4, v3
	s_waitcnt lgkmcnt(0)
	v_add_f32_e32 v6, v4, v6
	v_cndmask_b32_e64 v4, v4, v6, s[2:3]
	v_cmp_gt_u32_e64 s[2:3], 12, v3
	s_nop 1
	v_cndmask_b32_e64 v6, 0, 1, s[2:3]
	v_lshlrev_b32_e32 v6, 2, v6
	v_add_lshl_u32 v6, v6, v1, 2
	ds_bpermute_b32 v6, v6, v4
	v_cmp_lt_u32_e64 s[2:3], v7, v5
	s_waitcnt lgkmcnt(0)
	v_add_f32_e32 v6, v4, v6
	v_cndmask_b32_e64 v4, v4, v6, s[2:3]
	v_cmp_gt_u32_e64 s[2:3], 8, v3
	v_add_u32_e32 v3, 8, v3
	s_nop 0
	v_cndmask_b32_e64 v6, 0, 1, s[2:3]
	v_lshlrev_b32_e32 v6, 3, v6
	v_add_lshl_u32 v1, v6, v1, 2
	ds_bpermute_b32 v1, v1, v4
	v_cmp_lt_u32_e64 s[2:3], v3, v5
	s_waitcnt lgkmcnt(0)
	v_add_f32_e32 v1, v4, v1
	v_cndmask_b32_e64 v1, v4, v1, s[2:3]
	v_cndmask_b32_e32 v2, v2, v1, vcc
.LBB32_10:
	s_or_b64 exec, exec, s[14:15]
	v_cmp_eq_u32_e32 vcc, 0, v0
	s_and_saveexec_b64 s[2:3], vcc
	s_cbranch_execz .LBB32_12
; %bb.11:
	v_cvt_f32_i32_e32 v1, s18
	s_load_dword s14, s[0:1], 0x30
	v_div_scale_f32 v3, s[0:1], v1, v1, v2
	v_rcp_f32_e32 v4, v3
	v_div_scale_f32 v5, vcc, v2, v1, v2
	s_mov_b32 s0, 0x800000
	v_fma_f32 v6, -v3, v4, 1.0
	v_fmac_f32_e32 v4, v6, v4
	v_mul_f32_e32 v6, v5, v4
	v_fma_f32 v7, -v3, v6, v5
	v_fmac_f32_e32 v6, v7, v4
	v_fma_f32 v3, -v3, v6, v5
	v_div_fmas_f32 v3, v3, v4, v6
	v_div_fixup_f32 v1, v3, v1, v2
	s_waitcnt lgkmcnt(0)
	v_add_f32_e32 v1, s14, v1
	v_mul_f32_e32 v2, 0x4b800000, v1
	v_cmp_gt_f32_e32 vcc, s0, v1
	s_nop 1
	v_cndmask_b32_e32 v1, v1, v2, vcc
	v_rsq_f32_e32 v1, v1
	s_nop 0
	v_mul_f32_e32 v2, 0x45800000, v1
	v_cndmask_b32_e32 v1, v1, v2, vcc
	v_mov_b32_e32 v2, 0
	ds_write_b32 v2, v1 offset:64
.LBB32_12:
	s_or_b64 exec, exec, s[2:3]
	s_waitcnt lgkmcnt(0)
	s_barrier
	s_and_saveexec_b64 s[0:1], s[4:5]
	s_cbranch_execz .LBB32_63
; %bb.13:
	s_load_dword s2, s[10:11], 0x0
	v_mov_b32_e32 v3, 0
	ds_read_b32 v1, v3 offset:64
	v_mov_b32_e32 v11, v3
	v_add_lshl_u32 v12, v0, s17, 3
	s_waitcnt lgkmcnt(0)
	v_div_scale_f32 v2, s[0:1], s2, s2, 1.0
	v_rcp_f32_e32 v4, v2
	v_div_scale_f32 v5, vcc, 1.0, s2, 1.0
	v_lshlrev_b32_e32 v21, 3, v10
	v_fma_f32 v6, -v2, v4, 1.0
	v_fmac_f32_e32 v4, v6, v4
	v_mul_f32_e32 v6, v5, v4
	v_fma_f32 v7, -v2, v6, v5
	v_fmac_f32_e32 v6, v7, v4
	v_fma_f32 v2, -v2, v6, v5
	v_div_fmas_f32 v2, v2, v4, v6
	v_div_fixup_f32 v20, v2, s2, 1.0
	v_lshlrev_b32_e32 v2, 4, v0
	v_lshl_add_u64 v[4:5], v[2:3], 0, s[12:13]
	v_lshl_add_u64 v[14:15], v[4:5], 0, 14
	v_lshlrev_b64 v[16:17], 4, v[10:11]
	s_mov_b64 s[0:1], 0
	s_mov_b32 s10, 0x43f00000
	s_mov_b32 s11, 0x3c7fffff
	;; [unrolled: 1-line block ×4, first 2 shown]
	s_movk_i32 s14, 0x80
	s_branch .LBB32_16
.LBB32_14:                              ;   in Loop: Header=BB32_16 Depth=1
	s_or_b64 exec, exec, s[4:5]
.LBB32_15:                              ;   in Loop: Header=BB32_16 Depth=1
	s_or_b64 exec, exec, s[2:3]
	v_add_u32_e32 v0, v0, v10
	v_lshrrev_b32_e32 v3, 24, v3
	v_cmp_le_i32_e32 vcc, s16, v0
	v_and_or_b32 v2, v3, s14, v2
	v_add_u32_e32 v12, v12, v21
	s_or_b64 s[0:1], vcc, s[0:1]
	v_lshl_add_u64 v[14:15], v[14:15], 0, v[16:17]
	global_store_byte v[18:19], v2, off offset:7
	s_andn2_b64 exec, exec, s[0:1]
	s_cbranch_execz .LBB32_63
.LBB32_16:                              ; =>This Inner Loop Header: Depth=1
	v_add_u32_e32 v2, s17, v0
	v_ashrrev_i32_e32 v3, 31, v2
	v_lshl_add_u64 v[18:19], v[2:3], 4, s[6:7]
	global_load_dwordx4 v[2:5], v[18:19], off
	global_load_dwordx4 v[6:9], v[14:15], off offset:-14
	v_mov_b32_e32 v18, 0x7f
	s_waitcnt vmcnt(1)
	v_fma_mixlo_f16 v11, v1, v2, 0 op_sel_hi:[0,1,0]
	s_waitcnt vmcnt(0)
	v_mul_f16_e32 v11, v6, v11
	v_cvt_f32_f16_e32 v13, v11
	v_mov_b32_e32 v11, 0x7f
	v_mul_f32_e32 v13, v20, v13
	v_min_f32_e32 v13, 0x43e00000, v13
	v_max_f32_e32 v13, 0xc3e00000, v13
	v_and_b32_e32 v19, 0x7fffffff, v13
	v_cmp_gt_u32_e32 vcc, s10, v19
	s_and_saveexec_b64 s[2:3], vcc
	s_cbranch_execz .LBB32_22
; %bb.17:                               ;   in Loop: Header=BB32_16 Depth=1
	v_cmp_lt_u32_e32 vcc, s11, v19
                                        ; implicit-def: $vgpr18
	s_and_saveexec_b64 s[4:5], vcc
	s_xor_b64 s[4:5], exec, s[4:5]
; %bb.18:                               ;   in Loop: Header=BB32_16 Depth=1
	v_bfe_u32 v18, v13, 20, 1
	v_add3_u32 v18, v13, v18, s12
	v_lshrrev_b32_e32 v18, 20, v18
; %bb.19:                               ;   in Loop: Header=BB32_16 Depth=1
	s_andn2_saveexec_b64 s[4:5], s[4:5]
; %bb.20:                               ;   in Loop: Header=BB32_16 Depth=1
	v_add_f32_e64 v18, |v13|, s13
; %bb.21:                               ;   in Loop: Header=BB32_16 Depth=1
	s_or_b64 exec, exec, s[4:5]
.LBB32_22:                              ;   in Loop: Header=BB32_16 Depth=1
	s_or_b64 exec, exec, s[2:3]
	v_fma_mixlo_f16 v2, v1, v2, 0 op_sel:[0,1,0] op_sel_hi:[0,1,0]
	v_mul_f16_sdwa v2, v6, v2 dst_sel:DWORD dst_unused:UNUSED_PAD src0_sel:WORD_1 src1_sel:DWORD
	v_cvt_f32_f16_e32 v2, v2
	v_lshrrev_b32_e32 v13, 24, v13
	v_and_or_b32 v22, v13, s14, v18
	v_ashrrev_i32_e32 v13, 31, v12
	v_mul_f32_e32 v2, v20, v2
	v_min_f32_e32 v2, 0x43e00000, v2
	v_max_f32_e32 v2, 0xc3e00000, v2
	v_and_b32_e32 v6, 0x7fffffff, v2
	v_lshl_add_u64 v[18:19], s[8:9], 0, v[12:13]
	v_cmp_gt_u32_e32 vcc, s10, v6
	global_store_byte v[18:19], v22, off
	s_and_saveexec_b64 s[2:3], vcc
	s_cbranch_execz .LBB32_28
; %bb.23:                               ;   in Loop: Header=BB32_16 Depth=1
	v_cmp_lt_u32_e32 vcc, s11, v6
                                        ; implicit-def: $vgpr11
	s_and_saveexec_b64 s[4:5], vcc
	s_xor_b64 s[4:5], exec, s[4:5]
; %bb.24:                               ;   in Loop: Header=BB32_16 Depth=1
	v_bfe_u32 v6, v2, 20, 1
	v_add3_u32 v6, v2, v6, s12
	v_lshrrev_b32_e32 v11, 20, v6
; %bb.25:                               ;   in Loop: Header=BB32_16 Depth=1
	s_andn2_saveexec_b64 s[4:5], s[4:5]
; %bb.26:                               ;   in Loop: Header=BB32_16 Depth=1
	v_add_f32_e64 v11, |v2|, s13
; %bb.27:                               ;   in Loop: Header=BB32_16 Depth=1
	s_or_b64 exec, exec, s[4:5]
.LBB32_28:                              ;   in Loop: Header=BB32_16 Depth=1
	s_or_b64 exec, exec, s[2:3]
	v_fma_mixlo_f16 v6, v1, v3, 0 op_sel_hi:[0,1,0]
	v_mul_f16_e32 v6, v7, v6
	v_cvt_f32_f16_e32 v6, v6
	v_lshrrev_b32_e32 v2, 24, v2
	v_and_or_b32 v2, v2, s14, v11
	global_store_byte v[18:19], v2, off offset:1
	v_mul_f32_e32 v2, v20, v6
	v_min_f32_e32 v2, 0x43e00000, v2
	v_max_f32_e32 v6, 0xc3e00000, v2
	v_and_b32_e32 v13, 0x7fffffff, v6
	v_cmp_gt_u32_e32 vcc, s10, v13
	v_mov_b32_e32 v2, 0x7f
	v_mov_b32_e32 v11, 0x7f
	s_and_saveexec_b64 s[2:3], vcc
	s_cbranch_execz .LBB32_34
; %bb.29:                               ;   in Loop: Header=BB32_16 Depth=1
	v_cmp_lt_u32_e32 vcc, s11, v13
                                        ; implicit-def: $vgpr11
	s_and_saveexec_b64 s[4:5], vcc
	s_xor_b64 s[4:5], exec, s[4:5]
; %bb.30:                               ;   in Loop: Header=BB32_16 Depth=1
	v_bfe_u32 v11, v6, 20, 1
	v_add3_u32 v11, v6, v11, s12
	v_lshrrev_b32_e32 v11, 20, v11
; %bb.31:                               ;   in Loop: Header=BB32_16 Depth=1
	s_andn2_saveexec_b64 s[4:5], s[4:5]
; %bb.32:                               ;   in Loop: Header=BB32_16 Depth=1
	v_add_f32_e64 v11, |v6|, s13
; %bb.33:                               ;   in Loop: Header=BB32_16 Depth=1
	s_or_b64 exec, exec, s[4:5]
.LBB32_34:                              ;   in Loop: Header=BB32_16 Depth=1
	s_or_b64 exec, exec, s[2:3]
	v_fma_mixlo_f16 v3, v1, v3, 0 op_sel:[0,1,0] op_sel_hi:[0,1,0]
	v_mul_f16_sdwa v3, v7, v3 dst_sel:DWORD dst_unused:UNUSED_PAD src0_sel:WORD_1 src1_sel:DWORD
	v_cvt_f32_f16_e32 v3, v3
	v_lshrrev_b32_e32 v6, 24, v6
	v_and_or_b32 v6, v6, s14, v11
	global_store_byte v[18:19], v6, off offset:2
	v_mul_f32_e32 v3, v20, v3
	v_min_f32_e32 v3, 0x43e00000, v3
	v_max_f32_e32 v3, 0xc3e00000, v3
	v_and_b32_e32 v6, 0x7fffffff, v3
	v_cmp_gt_u32_e32 vcc, s10, v6
	s_and_saveexec_b64 s[2:3], vcc
	s_cbranch_execz .LBB32_40
; %bb.35:                               ;   in Loop: Header=BB32_16 Depth=1
	v_cmp_lt_u32_e32 vcc, s11, v6
                                        ; implicit-def: $vgpr2
	s_and_saveexec_b64 s[4:5], vcc
	s_xor_b64 s[4:5], exec, s[4:5]
; %bb.36:                               ;   in Loop: Header=BB32_16 Depth=1
	v_bfe_u32 v2, v3, 20, 1
	v_add3_u32 v2, v3, v2, s12
	v_lshrrev_b32_e32 v2, 20, v2
; %bb.37:                               ;   in Loop: Header=BB32_16 Depth=1
	s_andn2_saveexec_b64 s[4:5], s[4:5]
; %bb.38:                               ;   in Loop: Header=BB32_16 Depth=1
	v_add_f32_e64 v2, |v3|, s13
; %bb.39:                               ;   in Loop: Header=BB32_16 Depth=1
	s_or_b64 exec, exec, s[4:5]
.LBB32_40:                              ;   in Loop: Header=BB32_16 Depth=1
	s_or_b64 exec, exec, s[2:3]
	v_fma_mixlo_f16 v6, v1, v4, 0 op_sel_hi:[0,1,0]
	v_mul_f16_e32 v6, v8, v6
	v_cvt_f32_f16_e32 v6, v6
	v_lshrrev_b32_e32 v3, 24, v3
	v_and_or_b32 v2, v3, s14, v2
	global_store_byte v[18:19], v2, off offset:3
	v_mul_f32_e32 v2, v20, v6
	v_min_f32_e32 v2, 0x43e00000, v2
	v_max_f32_e32 v3, 0xc3e00000, v2
	v_and_b32_e32 v7, 0x7fffffff, v3
	v_cmp_gt_u32_e32 vcc, s10, v7
	v_mov_b32_e32 v2, 0x7f
	v_mov_b32_e32 v6, 0x7f
	s_and_saveexec_b64 s[2:3], vcc
	s_cbranch_execz .LBB32_46
; %bb.41:                               ;   in Loop: Header=BB32_16 Depth=1
	v_cmp_lt_u32_e32 vcc, s11, v7
                                        ; implicit-def: $vgpr6
	s_and_saveexec_b64 s[4:5], vcc
	s_xor_b64 s[4:5], exec, s[4:5]
; %bb.42:                               ;   in Loop: Header=BB32_16 Depth=1
	v_bfe_u32 v6, v3, 20, 1
	v_add3_u32 v6, v3, v6, s12
	v_lshrrev_b32_e32 v6, 20, v6
; %bb.43:                               ;   in Loop: Header=BB32_16 Depth=1
	s_andn2_saveexec_b64 s[4:5], s[4:5]
; %bb.44:                               ;   in Loop: Header=BB32_16 Depth=1
	v_add_f32_e64 v6, |v3|, s13
; %bb.45:                               ;   in Loop: Header=BB32_16 Depth=1
	s_or_b64 exec, exec, s[4:5]
.LBB32_46:                              ;   in Loop: Header=BB32_16 Depth=1
	s_or_b64 exec, exec, s[2:3]
	v_fma_mixlo_f16 v4, v1, v4, 0 op_sel:[0,1,0] op_sel_hi:[0,1,0]
	v_mul_f16_sdwa v4, v8, v4 dst_sel:DWORD dst_unused:UNUSED_PAD src0_sel:WORD_1 src1_sel:DWORD
	v_cvt_f32_f16_e32 v4, v4
	v_lshrrev_b32_e32 v3, 24, v3
	v_and_or_b32 v3, v3, s14, v6
	global_store_byte v[18:19], v3, off offset:4
	v_mul_f32_e32 v3, v20, v4
	v_min_f32_e32 v3, 0x43e00000, v3
	v_max_f32_e32 v3, 0xc3e00000, v3
	v_and_b32_e32 v4, 0x7fffffff, v3
	v_cmp_gt_u32_e32 vcc, s10, v4
	s_and_saveexec_b64 s[2:3], vcc
	s_cbranch_execz .LBB32_52
; %bb.47:                               ;   in Loop: Header=BB32_16 Depth=1
	v_cmp_lt_u32_e32 vcc, s11, v4
                                        ; implicit-def: $vgpr2
	s_and_saveexec_b64 s[4:5], vcc
	s_xor_b64 s[4:5], exec, s[4:5]
; %bb.48:                               ;   in Loop: Header=BB32_16 Depth=1
	v_bfe_u32 v2, v3, 20, 1
	v_add3_u32 v2, v3, v2, s12
	v_lshrrev_b32_e32 v2, 20, v2
; %bb.49:                               ;   in Loop: Header=BB32_16 Depth=1
	s_andn2_saveexec_b64 s[4:5], s[4:5]
; %bb.50:                               ;   in Loop: Header=BB32_16 Depth=1
	v_add_f32_e64 v2, |v3|, s13
; %bb.51:                               ;   in Loop: Header=BB32_16 Depth=1
	s_or_b64 exec, exec, s[4:5]
.LBB32_52:                              ;   in Loop: Header=BB32_16 Depth=1
	s_or_b64 exec, exec, s[2:3]
	v_fma_mixlo_f16 v4, v1, v5, 0 op_sel_hi:[0,1,0]
	v_mul_f16_e32 v4, v9, v4
	v_cvt_f32_f16_e32 v4, v4
	v_lshrrev_b32_e32 v3, 24, v3
	v_and_or_b32 v2, v3, s14, v2
	global_store_byte v[18:19], v2, off offset:5
	v_mul_f32_e32 v2, v20, v4
	v_min_f32_e32 v2, 0x43e00000, v2
	v_max_f32_e32 v3, 0xc3e00000, v2
	v_and_b32_e32 v6, 0x7fffffff, v3
	v_cmp_gt_u32_e32 vcc, s10, v6
	v_mov_b32_e32 v2, 0x7f
	v_mov_b32_e32 v4, 0x7f
	s_and_saveexec_b64 s[2:3], vcc
	s_cbranch_execz .LBB32_58
; %bb.53:                               ;   in Loop: Header=BB32_16 Depth=1
	v_cmp_lt_u32_e32 vcc, s11, v6
                                        ; implicit-def: $vgpr4
	s_and_saveexec_b64 s[4:5], vcc
	s_xor_b64 s[4:5], exec, s[4:5]
; %bb.54:                               ;   in Loop: Header=BB32_16 Depth=1
	v_bfe_u32 v4, v3, 20, 1
	v_add3_u32 v4, v3, v4, s12
	v_lshrrev_b32_e32 v4, 20, v4
; %bb.55:                               ;   in Loop: Header=BB32_16 Depth=1
	s_andn2_saveexec_b64 s[4:5], s[4:5]
; %bb.56:                               ;   in Loop: Header=BB32_16 Depth=1
	v_add_f32_e64 v4, |v3|, s13
; %bb.57:                               ;   in Loop: Header=BB32_16 Depth=1
	s_or_b64 exec, exec, s[4:5]
.LBB32_58:                              ;   in Loop: Header=BB32_16 Depth=1
	s_or_b64 exec, exec, s[2:3]
	v_fma_mixlo_f16 v5, v1, v5, 0 op_sel:[0,1,0] op_sel_hi:[0,1,0]
	v_mul_f16_sdwa v5, v9, v5 dst_sel:DWORD dst_unused:UNUSED_PAD src0_sel:WORD_1 src1_sel:DWORD
	v_cvt_f32_f16_e32 v5, v5
	v_lshrrev_b32_e32 v3, 24, v3
	v_and_or_b32 v3, v3, s14, v4
	global_store_byte v[18:19], v3, off offset:6
	v_mul_f32_e32 v3, v20, v5
	v_min_f32_e32 v3, 0x43e00000, v3
	v_max_f32_e32 v3, 0xc3e00000, v3
	v_and_b32_e32 v4, 0x7fffffff, v3
	v_cmp_gt_u32_e32 vcc, s10, v4
	s_and_saveexec_b64 s[2:3], vcc
	s_cbranch_execz .LBB32_15
; %bb.59:                               ;   in Loop: Header=BB32_16 Depth=1
	v_cmp_lt_u32_e32 vcc, s11, v4
                                        ; implicit-def: $vgpr2
	s_and_saveexec_b64 s[4:5], vcc
	s_xor_b64 s[4:5], exec, s[4:5]
; %bb.60:                               ;   in Loop: Header=BB32_16 Depth=1
	v_bfe_u32 v2, v3, 20, 1
	v_add3_u32 v2, v3, v2, s12
	v_lshrrev_b32_e32 v2, 20, v2
; %bb.61:                               ;   in Loop: Header=BB32_16 Depth=1
	s_andn2_saveexec_b64 s[4:5], s[4:5]
	s_cbranch_execz .LBB32_14
; %bb.62:                               ;   in Loop: Header=BB32_16 Depth=1
	v_add_f32_e64 v2, |v3|, s13
	s_branch .LBB32_14
.LBB32_63:
	s_endpgm
	.section	.rodata,"a",@progbits
	.p2align	6, 0x0
	.amdhsa_kernel _ZN4vllm42fused_add_rms_norm_static_fp8_quant_kernelIN3c104HalfELi8ENS1_13Float8_e4m3fnEEENSt9enable_ifIXaagtT0_Li0Esr12_typeConvertIT_EE6existsEvE4typeEPT1_PS5_iSA_PKS5_PKffii
		.amdhsa_group_segment_fixed_size 68
		.amdhsa_private_segment_fixed_size 0
		.amdhsa_kernarg_size 320
		.amdhsa_user_sgpr_count 2
		.amdhsa_user_sgpr_dispatch_ptr 0
		.amdhsa_user_sgpr_queue_ptr 0
		.amdhsa_user_sgpr_kernarg_segment_ptr 1
		.amdhsa_user_sgpr_dispatch_id 0
		.amdhsa_user_sgpr_kernarg_preload_length 0
		.amdhsa_user_sgpr_kernarg_preload_offset 0
		.amdhsa_user_sgpr_private_segment_size 0
		.amdhsa_uses_dynamic_stack 0
		.amdhsa_enable_private_segment 0
		.amdhsa_system_sgpr_workgroup_id_x 1
		.amdhsa_system_sgpr_workgroup_id_y 0
		.amdhsa_system_sgpr_workgroup_id_z 0
		.amdhsa_system_sgpr_workgroup_info 0
		.amdhsa_system_vgpr_workitem_id 0
		.amdhsa_next_free_vgpr 23
		.amdhsa_next_free_sgpr 21
		.amdhsa_accum_offset 24
		.amdhsa_reserve_vcc 1
		.amdhsa_float_round_mode_32 0
		.amdhsa_float_round_mode_16_64 0
		.amdhsa_float_denorm_mode_32 3
		.amdhsa_float_denorm_mode_16_64 3
		.amdhsa_dx10_clamp 1
		.amdhsa_ieee_mode 1
		.amdhsa_fp16_overflow 0
		.amdhsa_tg_split 0
		.amdhsa_exception_fp_ieee_invalid_op 0
		.amdhsa_exception_fp_denorm_src 0
		.amdhsa_exception_fp_ieee_div_zero 0
		.amdhsa_exception_fp_ieee_overflow 0
		.amdhsa_exception_fp_ieee_underflow 0
		.amdhsa_exception_fp_ieee_inexact 0
		.amdhsa_exception_int_div_zero 0
	.end_amdhsa_kernel
	.section	.text._ZN4vllm42fused_add_rms_norm_static_fp8_quant_kernelIN3c104HalfELi8ENS1_13Float8_e4m3fnEEENSt9enable_ifIXaagtT0_Li0Esr12_typeConvertIT_EE6existsEvE4typeEPT1_PS5_iSA_PKS5_PKffii,"axG",@progbits,_ZN4vllm42fused_add_rms_norm_static_fp8_quant_kernelIN3c104HalfELi8ENS1_13Float8_e4m3fnEEENSt9enable_ifIXaagtT0_Li0Esr12_typeConvertIT_EE6existsEvE4typeEPT1_PS5_iSA_PKS5_PKffii,comdat
.Lfunc_end32:
	.size	_ZN4vllm42fused_add_rms_norm_static_fp8_quant_kernelIN3c104HalfELi8ENS1_13Float8_e4m3fnEEENSt9enable_ifIXaagtT0_Li0Esr12_typeConvertIT_EE6existsEvE4typeEPT1_PS5_iSA_PKS5_PKffii, .Lfunc_end32-_ZN4vllm42fused_add_rms_norm_static_fp8_quant_kernelIN3c104HalfELi8ENS1_13Float8_e4m3fnEEENSt9enable_ifIXaagtT0_Li0Esr12_typeConvertIT_EE6existsEvE4typeEPT1_PS5_iSA_PKS5_PKffii
                                        ; -- End function
	.section	.AMDGPU.csdata,"",@progbits
; Kernel info:
; codeLenInByte = 2672
; NumSgprs: 27
; NumVgprs: 23
; NumAgprs: 0
; TotalNumVgprs: 23
; ScratchSize: 0
; MemoryBound: 0
; FloatMode: 240
; IeeeMode: 1
; LDSByteSize: 68 bytes/workgroup (compile time only)
; SGPRBlocks: 3
; VGPRBlocks: 2
; NumSGPRsForWavesPerEU: 27
; NumVGPRsForWavesPerEU: 23
; AccumOffset: 24
; Occupancy: 8
; WaveLimiterHint : 0
; COMPUTE_PGM_RSRC2:SCRATCH_EN: 0
; COMPUTE_PGM_RSRC2:USER_SGPR: 2
; COMPUTE_PGM_RSRC2:TRAP_HANDLER: 0
; COMPUTE_PGM_RSRC2:TGID_X_EN: 1
; COMPUTE_PGM_RSRC2:TGID_Y_EN: 0
; COMPUTE_PGM_RSRC2:TGID_Z_EN: 0
; COMPUTE_PGM_RSRC2:TIDIG_COMP_CNT: 0
; COMPUTE_PGM_RSRC3_GFX90A:ACCUM_OFFSET: 5
; COMPUTE_PGM_RSRC3_GFX90A:TG_SPLIT: 0
	.section	.text._ZN4vllm42fused_add_rms_norm_static_fp8_quant_kernelIN3c104HalfELi8ENS1_15Float8_e4m3fnuzEEENSt9enable_ifIXaagtT0_Li0Esr12_typeConvertIT_EE6existsEvE4typeEPT1_PS5_iSA_PKS5_PKffii,"axG",@progbits,_ZN4vllm42fused_add_rms_norm_static_fp8_quant_kernelIN3c104HalfELi8ENS1_15Float8_e4m3fnuzEEENSt9enable_ifIXaagtT0_Li0Esr12_typeConvertIT_EE6existsEvE4typeEPT1_PS5_iSA_PKS5_PKffii,comdat
	.protected	_ZN4vllm42fused_add_rms_norm_static_fp8_quant_kernelIN3c104HalfELi8ENS1_15Float8_e4m3fnuzEEENSt9enable_ifIXaagtT0_Li0Esr12_typeConvertIT_EE6existsEvE4typeEPT1_PS5_iSA_PKS5_PKffii ; -- Begin function _ZN4vllm42fused_add_rms_norm_static_fp8_quant_kernelIN3c104HalfELi8ENS1_15Float8_e4m3fnuzEEENSt9enable_ifIXaagtT0_Li0Esr12_typeConvertIT_EE6existsEvE4typeEPT1_PS5_iSA_PKS5_PKffii
	.globl	_ZN4vllm42fused_add_rms_norm_static_fp8_quant_kernelIN3c104HalfELi8ENS1_15Float8_e4m3fnuzEEENSt9enable_ifIXaagtT0_Li0Esr12_typeConvertIT_EE6existsEvE4typeEPT1_PS5_iSA_PKS5_PKffii
	.p2align	8
	.type	_ZN4vllm42fused_add_rms_norm_static_fp8_quant_kernelIN3c104HalfELi8ENS1_15Float8_e4m3fnuzEEENSt9enable_ifIXaagtT0_Li0Esr12_typeConvertIT_EE6existsEvE4typeEPT1_PS5_iSA_PKS5_PKffii,@function
_ZN4vllm42fused_add_rms_norm_static_fp8_quant_kernelIN3c104HalfELi8ENS1_15Float8_e4m3fnuzEEENSt9enable_ifIXaagtT0_Li0Esr12_typeConvertIT_EE6existsEvE4typeEPT1_PS5_iSA_PKS5_PKffii: ; @_ZN4vllm42fused_add_rms_norm_static_fp8_quant_kernelIN3c104HalfELi8ENS1_15Float8_e4m3fnuzEEENSt9enable_ifIXaagtT0_Li0Esr12_typeConvertIT_EE6existsEvE4typeEPT1_PS5_iSA_PKS5_PKffii
; %bb.0:
	s_load_dword s18, s[0:1], 0x38
	s_load_dwordx2 s[14:15], s[0:1], 0x18
                                        ; implicit-def: $sgpr10
	s_waitcnt lgkmcnt(0)
	s_ashr_i32 s3, s18, 31
	s_lshr_b32 s3, s3, 29
	s_add_i32 s3, s18, s3
	s_ashr_i32 s20, s3, 3
	v_cmp_gt_i32_e64 s[4:5], s20, v0
	v_cmp_le_i32_e32 vcc, s20, v0
                                        ; implicit-def: $sgpr3
	s_and_saveexec_b64 s[6:7], vcc
	s_xor_b64 s[6:7], exec, s[6:7]
	s_cbranch_execz .LBB33_2
; %bb.1:
	s_load_dword s3, s[0:1], 0x4c
	s_mov_b32 s10, 0
	s_waitcnt lgkmcnt(0)
	s_and_b32 s3, s3, 0xffff
.LBB33_2:
	s_or_saveexec_b64 s[8:9], s[6:7]
	s_load_dwordx2 s[6:7], s[0:1], 0x28
	v_mov_b32_e32 v2, s10
	v_mov_b32_e32 v6, s3
	s_mul_i32 s21, s20, s2
	s_xor_b64 exec, exec, s[8:9]
	s_cbranch_execz .LBB33_6
; %bb.3:
	s_load_dword s16, s[0:1], 0x10
	s_load_dword s3, s[0:1], 0x4c
	s_load_dwordx2 s[10:11], s[0:1], 0x8
	s_mov_b64 s[12:13], 0
	v_mov_b32_e32 v2, 0
	s_waitcnt lgkmcnt(0)
	s_ashr_i32 s17, s16, 31
	s_lshr_b32 s17, s17, 29
	s_add_i32 s16, s16, s17
	s_ashr_i32 s16, s16, 3
	s_and_b32 s3, s3, 0xffff
	s_mul_i32 s2, s16, s2
	v_mov_b32_e32 v1, v0
.LBB33_4:                               ; =>This Inner Loop Header: Depth=1
	v_add_u32_e32 v4, s2, v1
	v_add_u32_e32 v6, s21, v1
	v_ashrrev_i32_e32 v5, 31, v4
	v_ashrrev_i32_e32 v7, 31, v6
	v_lshl_add_u64 v[12:13], v[4:5], 4, s[10:11]
	v_lshl_add_u64 v[14:15], v[6:7], 4, s[14:15]
	global_load_dwordx4 v[4:7], v[12:13], off
	global_load_dwordx4 v[8:11], v[14:15], off
	v_add_u32_e32 v1, s3, v1
	v_cmp_le_i32_e32 vcc, s20, v1
	s_or_b64 s[12:13], vcc, s[12:13]
	s_waitcnt vmcnt(0)
	v_pk_add_f16 v4, v4, v8
	v_pk_add_f16 v5, v5, v9
	;; [unrolled: 1-line block ×3, first 2 shown]
	v_cvt_f32_f16_sdwa v3, v4 dst_sel:DWORD dst_unused:UNUSED_PAD src0_sel:WORD_1
	v_cvt_f32_f16_sdwa v8, v5 dst_sel:DWORD dst_unused:UNUSED_PAD src0_sel:WORD_1
	v_pk_add_f16 v7, v7, v11
	v_cvt_f32_f16_sdwa v9, v6 dst_sel:DWORD dst_unused:UNUSED_PAD src0_sel:WORD_1
	v_cvt_f32_f16_sdwa v10, v7 dst_sel:DWORD dst_unused:UNUSED_PAD src0_sel:WORD_1
	v_mul_f32_e32 v3, v3, v3
	v_mul_f32_e32 v8, v8, v8
	global_store_dwordx4 v[14:15], v[4:7], off
	v_mul_f32_e32 v9, v9, v9
	v_fma_mix_f32 v3, v4, v4, v3 op_sel_hi:[1,1,0]
	v_fma_mix_f32 v4, v5, v5, v8 op_sel_hi:[1,1,0]
	v_mul_f32_e32 v10, v10, v10
	v_fma_mix_f32 v5, v6, v6, v9 op_sel_hi:[1,1,0]
	v_add_f32_e32 v3, v3, v4
	v_fma_mix_f32 v6, v7, v7, v10 op_sel_hi:[1,1,0]
	v_add_f32_e32 v3, v3, v5
	v_add_f32_e32 v3, v3, v6
	v_add_f32_e32 v2, v2, v3
	s_andn2_b64 exec, exec, s[12:13]
	s_cbranch_execnz .LBB33_4
; %bb.5:
	s_or_b64 exec, exec, s[12:13]
	v_mov_b32_e32 v6, s3
.LBB33_6:
	s_or_b64 exec, exec, s[8:9]
	v_mbcnt_lo_u32_b32 v1, -1, 0
	v_mbcnt_hi_u32_b32 v1, -1, v1
	v_and_b32_e32 v3, 63, v1
	v_cmp_ne_u32_e32 vcc, 63, v3
	v_and_b32_e32 v5, 0x3c0, v0
	v_sub_u32_e64 v5, v6, v5 clamp
	v_addc_co_u32_e32 v4, vcc, 0, v1, vcc
	v_lshlrev_b32_e32 v4, 2, v4
	ds_bpermute_b32 v4, v4, v2
	v_add_u32_e32 v7, 1, v1
	v_cmp_lt_u32_e32 vcc, v7, v5
	v_add_u32_e32 v7, 2, v1
	s_load_dwordx2 s[16:17], s[0:1], 0x0
	s_load_dwordx2 s[8:9], s[0:1], 0x20
	s_waitcnt lgkmcnt(0)
	v_add_f32_e32 v4, v2, v4
	v_cndmask_b32_e32 v2, v2, v4, vcc
	v_cmp_gt_u32_e32 vcc, 62, v3
	s_nop 1
	v_cndmask_b32_e64 v4, 0, 1, vcc
	v_lshlrev_b32_e32 v4, 1, v4
	v_add_lshl_u32 v4, v4, v1, 2
	ds_bpermute_b32 v4, v4, v2
	v_cmp_lt_u32_e32 vcc, v7, v5
	v_add_u32_e32 v7, 4, v1
	s_waitcnt lgkmcnt(0)
	v_add_f32_e32 v4, v2, v4
	v_cndmask_b32_e32 v2, v2, v4, vcc
	v_cmp_gt_u32_e32 vcc, 60, v3
	s_nop 1
	v_cndmask_b32_e64 v4, 0, 1, vcc
	v_lshlrev_b32_e32 v4, 2, v4
	v_add_lshl_u32 v4, v4, v1, 2
	ds_bpermute_b32 v4, v4, v2
	v_cmp_lt_u32_e32 vcc, v7, v5
	v_add_u32_e32 v7, 8, v1
	;; [unrolled: 11-line block ×3, first 2 shown]
	s_waitcnt lgkmcnt(0)
	v_add_f32_e32 v4, v2, v4
	v_cndmask_b32_e32 v2, v2, v4, vcc
	v_cmp_gt_u32_e32 vcc, 48, v3
	s_nop 1
	v_cndmask_b32_e64 v4, 0, 1, vcc
	v_lshlrev_b32_e32 v4, 4, v4
	v_add_lshl_u32 v4, v4, v1, 2
	ds_bpermute_b32 v4, v4, v2
	v_cmp_lt_u32_e32 vcc, v7, v5
	s_waitcnt lgkmcnt(0)
	v_add_f32_e32 v4, v2, v4
	v_cndmask_b32_e32 v2, v2, v4, vcc
	v_cmp_gt_u32_e32 vcc, 32, v3
	v_add_u32_e32 v4, 32, v1
	s_nop 0
	v_cndmask_b32_e64 v3, 0, 1, vcc
	v_lshlrev_b32_e32 v3, 5, v3
	v_add_lshl_u32 v3, v3, v1, 2
	ds_bpermute_b32 v3, v3, v2
	v_cmp_lt_u32_e32 vcc, v4, v5
	s_waitcnt lgkmcnt(0)
	v_add_f32_e32 v3, v2, v3
	v_cndmask_b32_e32 v2, v2, v3, vcc
	v_cmp_eq_u32_e32 vcc, 0, v1
	s_and_saveexec_b64 s[2:3], vcc
	s_cbranch_execz .LBB33_8
; %bb.7:
	v_lshrrev_b32_e32 v3, 4, v0
	v_and_b32_e32 v3, 60, v3
	ds_write_b32 v3, v2
.LBB33_8:
	s_or_b64 exec, exec, s[2:3]
	v_cmp_gt_u32_e32 vcc, 16, v0
	s_waitcnt lgkmcnt(0)
	s_barrier
	s_and_saveexec_b64 s[10:11], vcc
	s_cbranch_execz .LBB33_10
; %bb.9:
	v_lshlrev_b32_e32 v2, 2, v1
	ds_read_b32 v2, v2
	v_and_b32_e32 v3, 15, v1
	v_cmp_ne_u32_e32 vcc, 15, v3
	v_add_u32_e32 v5, 63, v6
	v_lshrrev_b32_e32 v5, 6, v5
	v_addc_co_u32_e32 v4, vcc, 0, v1, vcc
	v_lshlrev_b32_e32 v4, 2, v4
	s_waitcnt lgkmcnt(0)
	ds_bpermute_b32 v4, v4, v2
	v_add_u32_e32 v7, 1, v3
	v_cmp_gt_u32_e64 s[2:3], 14, v3
	v_cmp_lt_u32_e32 vcc, v7, v5
	v_add_u32_e32 v8, 2, v3
	v_cndmask_b32_e64 v7, 0, 1, s[2:3]
	s_waitcnt lgkmcnt(0)
	v_add_f32_e32 v4, v2, v4
	v_lshlrev_b32_e32 v7, 1, v7
	v_cndmask_b32_e32 v4, v2, v4, vcc
	v_add_lshl_u32 v7, v7, v1, 2
	ds_bpermute_b32 v7, v7, v4
	v_cmp_lt_u32_e64 s[2:3], v8, v5
	v_add_u32_e32 v8, 4, v3
	s_waitcnt lgkmcnt(0)
	v_add_f32_e32 v7, v4, v7
	v_cndmask_b32_e64 v4, v4, v7, s[2:3]
	v_cmp_gt_u32_e64 s[2:3], 12, v3
	s_nop 1
	v_cndmask_b32_e64 v7, 0, 1, s[2:3]
	v_lshlrev_b32_e32 v7, 2, v7
	v_add_lshl_u32 v7, v7, v1, 2
	ds_bpermute_b32 v7, v7, v4
	v_cmp_lt_u32_e64 s[2:3], v8, v5
	s_waitcnt lgkmcnt(0)
	v_add_f32_e32 v7, v4, v7
	v_cndmask_b32_e64 v4, v4, v7, s[2:3]
	v_cmp_gt_u32_e64 s[2:3], 8, v3
	v_add_u32_e32 v3, 8, v3
	s_nop 0
	v_cndmask_b32_e64 v7, 0, 1, s[2:3]
	v_lshlrev_b32_e32 v7, 3, v7
	v_add_lshl_u32 v1, v7, v1, 2
	ds_bpermute_b32 v1, v1, v4
	v_cmp_lt_u32_e64 s[2:3], v3, v5
	s_waitcnt lgkmcnt(0)
	v_add_f32_e32 v1, v4, v1
	v_cndmask_b32_e64 v1, v4, v1, s[2:3]
	v_cndmask_b32_e32 v2, v2, v1, vcc
.LBB33_10:
	s_or_b64 exec, exec, s[10:11]
	v_cmp_eq_u32_e32 vcc, 0, v0
	s_and_saveexec_b64 s[2:3], vcc
	s_cbranch_execz .LBB33_12
; %bb.11:
	v_cvt_f32_i32_e32 v1, s18
	s_load_dword s10, s[0:1], 0x30
	v_div_scale_f32 v3, s[0:1], v1, v1, v2
	v_rcp_f32_e32 v4, v3
	v_div_scale_f32 v5, vcc, v2, v1, v2
	s_mov_b32 s0, 0x800000
	v_fma_f32 v7, -v3, v4, 1.0
	v_fmac_f32_e32 v4, v7, v4
	v_mul_f32_e32 v7, v5, v4
	v_fma_f32 v8, -v3, v7, v5
	v_fmac_f32_e32 v7, v8, v4
	v_fma_f32 v3, -v3, v7, v5
	v_div_fmas_f32 v3, v3, v4, v7
	v_div_fixup_f32 v1, v3, v1, v2
	s_waitcnt lgkmcnt(0)
	v_add_f32_e32 v1, s10, v1
	v_mul_f32_e32 v2, 0x4b800000, v1
	v_cmp_gt_f32_e32 vcc, s0, v1
	s_nop 1
	v_cndmask_b32_e32 v1, v1, v2, vcc
	v_rsq_f32_e32 v1, v1
	s_nop 0
	v_mul_f32_e32 v2, 0x45800000, v1
	v_cndmask_b32_e32 v1, v1, v2, vcc
	v_mov_b32_e32 v2, 0
	ds_write_b32 v2, v1 offset:64
.LBB33_12:
	s_or_b64 exec, exec, s[2:3]
	s_waitcnt lgkmcnt(0)
	s_barrier
	s_and_saveexec_b64 s[0:1], s[4:5]
	s_cbranch_execz .LBB33_15
; %bb.13:
	s_load_dword s2, s[6:7], 0x0
	v_mov_b32_e32 v3, 0
	ds_read_b32 v1, v3 offset:64
	v_add_lshl_u32 v8, v0, s21, 3
	v_lshlrev_b32_e32 v15, 3, v6
	s_waitcnt lgkmcnt(0)
	v_div_scale_f32 v2, s[0:1], s2, s2, 1.0
	v_rcp_f32_e32 v4, v2
	v_div_scale_f32 v5, vcc, 1.0, s2, 1.0
	s_mov_b64 s[18:19], 0
	v_fma_f32 v7, -v2, v4, 1.0
	v_fmac_f32_e32 v4, v7, v4
	v_mul_f32_e32 v7, v5, v4
	v_fma_f32 v9, -v2, v7, v5
	v_fmac_f32_e32 v7, v9, v4
	v_fma_f32 v2, -v2, v7, v5
	v_div_fmas_f32 v2, v2, v4, v7
	v_div_fixup_f32 v14, v2, s2, 1.0
	v_lshlrev_b32_e32 v2, 4, v0
	v_lshl_add_u64 v[4:5], v[2:3], 0, s[8:9]
	v_mov_b32_e32 v7, v3
	v_lshl_add_u64 v[10:11], v[4:5], 0, 14
	v_lshlrev_b64 v[12:13], 4, v[6:7]
	s_mov_b32 s22, 0x7f800000
	s_mov_b32 s23, 0x43700000
	v_mov_b32_e32 v7, 0xc3700000
.LBB33_14:                              ; =>This Inner Loop Header: Depth=1
	v_add_u32_e32 v16, s21, v0
	v_ashrrev_i32_e32 v17, 31, v16
	v_lshl_add_u64 v[16:17], v[16:17], 4, s[14:15]
	global_load_dwordx4 v[16:19], v[16:17], off
	v_ashrrev_i32_e32 v9, 31, v8
	global_load_dwordx4 v[2:5], v[10:11], off offset:-14
	v_lshl_add_u64 v[20:21], s[16:17], 0, v[8:9]
	v_add_u32_e32 v0, v0, v6
	v_cmp_le_i32_e32 vcc, s20, v0
	s_or_b64 s[18:19], vcc, s[18:19]
	v_mov_b32_e32 v23, 0
	v_mov_b32_e32 v25, 0
	;; [unrolled: 1-line block ×8, first 2 shown]
	v_lshl_add_u64 v[10:11], v[10:11], 0, v[12:13]
	v_add_u32_e32 v8, v8, v15
	s_waitcnt vmcnt(1)
	v_fma_mixlo_f16 v9, v1, v16, 0 op_sel_hi:[0,1,0]
	v_fma_mixlo_f16 v16, v1, v16, 0 op_sel:[0,1,0] op_sel_hi:[0,1,0]
	v_fma_mixlo_f16 v30, v1, v17, 0 op_sel_hi:[0,1,0]
	v_fma_mixlo_f16 v17, v1, v17, 0 op_sel:[0,1,0] op_sel_hi:[0,1,0]
	;; [unrolled: 2-line block ×4, first 2 shown]
	s_waitcnt vmcnt(0)
	v_mul_f16_e32 v9, v2, v9
	v_mul_f16_sdwa v2, v2, v16 dst_sel:DWORD dst_unused:UNUSED_PAD src0_sel:WORD_1 src1_sel:DWORD
	v_mul_f16_e32 v16, v3, v30
	v_mul_f16_sdwa v3, v3, v17 dst_sel:DWORD dst_unused:UNUSED_PAD src0_sel:WORD_1 src1_sel:DWORD
	;; [unrolled: 2-line block ×4, first 2 shown]
	v_cvt_f32_f16_e32 v2, v2
	v_cvt_f32_f16_e32 v3, v3
	;; [unrolled: 1-line block ×8, first 2 shown]
	v_mul_f32_e32 v2, v14, v2
	v_mul_f32_e32 v3, v14, v3
	;; [unrolled: 1-line block ×8, first 2 shown]
	v_min_f32_e32 v2, 0x43600000, v2
	v_min_f32_e32 v3, 0x43600000, v3
	;; [unrolled: 1-line block ×8, first 2 shown]
	v_max_f32_e32 v2, 0xc3600000, v2
	v_max_f32_e32 v3, 0xc3600000, v3
	;; [unrolled: 1-line block ×8, first 2 shown]
	v_med3_f32 v30, v2, s23, v7
	v_cmp_nlg_f32_e64 vcc, |v2|, s22
	v_med3_f32 v32, v3, s23, v7
	v_cmp_nlg_f32_e64 s[2:3], |v3|, s22
	v_med3_f32 v34, v4, s23, v7
	v_cmp_nlg_f32_e64 s[6:7], |v4|, s22
	;; [unrolled: 2-line block ×3, first 2 shown]
	v_med3_f32 v19, v9, s23, v7
	v_med3_f32 v31, v16, s23, v7
	v_cmp_nlg_f32_e64 s[0:1], |v16|, s22
	v_med3_f32 v33, v17, s23, v7
	v_cmp_nlg_f32_e64 s[4:5], |v17|, s22
	;; [unrolled: 2-line block ×3, first 2 shown]
	v_cmp_nlg_f32_e64 s[12:13], |v9|, s22
	v_cndmask_b32_e32 v2, v30, v2, vcc
	v_cndmask_b32_e64 v3, v32, v3, s[2:3]
	v_cndmask_b32_e64 v4, v34, v4, s[6:7]
	;; [unrolled: 1-line block ×7, first 2 shown]
	v_cvt_pk_fp8_f32 v23, v2, v2
	v_cvt_pk_fp8_f32 v25, v3, v3
	;; [unrolled: 1-line block ×8, first 2 shown]
	v_lshlrev_b16_e32 v2, 8, v27
	v_lshlrev_b16_e32 v3, 8, v29
	;; [unrolled: 1-line block ×4, first 2 shown]
	v_or_b32_sdwa v2, v26, v2 dst_sel:DWORD dst_unused:UNUSED_PAD src0_sel:BYTE_0 src1_sel:DWORD
	v_or_b32_sdwa v3, v28, v3 dst_sel:WORD_1 dst_unused:UNUSED_PAD src0_sel:BYTE_0 src1_sel:DWORD
	v_or_b32_sdwa v4, v22, v4 dst_sel:DWORD dst_unused:UNUSED_PAD src0_sel:BYTE_0 src1_sel:DWORD
	v_or_b32_sdwa v5, v24, v5 dst_sel:WORD_1 dst_unused:UNUSED_PAD src0_sel:BYTE_0 src1_sel:DWORD
	v_or_b32_sdwa v3, v2, v3 dst_sel:DWORD dst_unused:UNUSED_PAD src0_sel:WORD_0 src1_sel:DWORD
	v_or_b32_sdwa v2, v4, v5 dst_sel:DWORD dst_unused:UNUSED_PAD src0_sel:WORD_0 src1_sel:DWORD
	global_store_dwordx2 v[20:21], v[2:3], off
	s_andn2_b64 exec, exec, s[18:19]
	s_cbranch_execnz .LBB33_14
.LBB33_15:
	s_endpgm
	.section	.rodata,"a",@progbits
	.p2align	6, 0x0
	.amdhsa_kernel _ZN4vllm42fused_add_rms_norm_static_fp8_quant_kernelIN3c104HalfELi8ENS1_15Float8_e4m3fnuzEEENSt9enable_ifIXaagtT0_Li0Esr12_typeConvertIT_EE6existsEvE4typeEPT1_PS5_iSA_PKS5_PKffii
		.amdhsa_group_segment_fixed_size 68
		.amdhsa_private_segment_fixed_size 0
		.amdhsa_kernarg_size 320
		.amdhsa_user_sgpr_count 2
		.amdhsa_user_sgpr_dispatch_ptr 0
		.amdhsa_user_sgpr_queue_ptr 0
		.amdhsa_user_sgpr_kernarg_segment_ptr 1
		.amdhsa_user_sgpr_dispatch_id 0
		.amdhsa_user_sgpr_kernarg_preload_length 0
		.amdhsa_user_sgpr_kernarg_preload_offset 0
		.amdhsa_user_sgpr_private_segment_size 0
		.amdhsa_uses_dynamic_stack 0
		.amdhsa_enable_private_segment 0
		.amdhsa_system_sgpr_workgroup_id_x 1
		.amdhsa_system_sgpr_workgroup_id_y 0
		.amdhsa_system_sgpr_workgroup_id_z 0
		.amdhsa_system_sgpr_workgroup_info 0
		.amdhsa_system_vgpr_workitem_id 0
		.amdhsa_next_free_vgpr 37
		.amdhsa_next_free_sgpr 24
		.amdhsa_accum_offset 40
		.amdhsa_reserve_vcc 1
		.amdhsa_float_round_mode_32 0
		.amdhsa_float_round_mode_16_64 0
		.amdhsa_float_denorm_mode_32 3
		.amdhsa_float_denorm_mode_16_64 3
		.amdhsa_dx10_clamp 1
		.amdhsa_ieee_mode 1
		.amdhsa_fp16_overflow 0
		.amdhsa_tg_split 0
		.amdhsa_exception_fp_ieee_invalid_op 0
		.amdhsa_exception_fp_denorm_src 0
		.amdhsa_exception_fp_ieee_div_zero 0
		.amdhsa_exception_fp_ieee_overflow 0
		.amdhsa_exception_fp_ieee_underflow 0
		.amdhsa_exception_fp_ieee_inexact 0
		.amdhsa_exception_int_div_zero 0
	.end_amdhsa_kernel
	.section	.text._ZN4vllm42fused_add_rms_norm_static_fp8_quant_kernelIN3c104HalfELi8ENS1_15Float8_e4m3fnuzEEENSt9enable_ifIXaagtT0_Li0Esr12_typeConvertIT_EE6existsEvE4typeEPT1_PS5_iSA_PKS5_PKffii,"axG",@progbits,_ZN4vllm42fused_add_rms_norm_static_fp8_quant_kernelIN3c104HalfELi8ENS1_15Float8_e4m3fnuzEEENSt9enable_ifIXaagtT0_Li0Esr12_typeConvertIT_EE6existsEvE4typeEPT1_PS5_iSA_PKS5_PKffii,comdat
.Lfunc_end33:
	.size	_ZN4vllm42fused_add_rms_norm_static_fp8_quant_kernelIN3c104HalfELi8ENS1_15Float8_e4m3fnuzEEENSt9enable_ifIXaagtT0_Li0Esr12_typeConvertIT_EE6existsEvE4typeEPT1_PS5_iSA_PKS5_PKffii, .Lfunc_end33-_ZN4vllm42fused_add_rms_norm_static_fp8_quant_kernelIN3c104HalfELi8ENS1_15Float8_e4m3fnuzEEENSt9enable_ifIXaagtT0_Li0Esr12_typeConvertIT_EE6existsEvE4typeEPT1_PS5_iSA_PKS5_PKffii
                                        ; -- End function
	.section	.AMDGPU.csdata,"",@progbits
; Kernel info:
; codeLenInByte = 2204
; NumSgprs: 30
; NumVgprs: 37
; NumAgprs: 0
; TotalNumVgprs: 37
; ScratchSize: 0
; MemoryBound: 0
; FloatMode: 240
; IeeeMode: 1
; LDSByteSize: 68 bytes/workgroup (compile time only)
; SGPRBlocks: 3
; VGPRBlocks: 4
; NumSGPRsForWavesPerEU: 30
; NumVGPRsForWavesPerEU: 37
; AccumOffset: 40
; Occupancy: 8
; WaveLimiterHint : 0
; COMPUTE_PGM_RSRC2:SCRATCH_EN: 0
; COMPUTE_PGM_RSRC2:USER_SGPR: 2
; COMPUTE_PGM_RSRC2:TRAP_HANDLER: 0
; COMPUTE_PGM_RSRC2:TGID_X_EN: 1
; COMPUTE_PGM_RSRC2:TGID_Y_EN: 0
; COMPUTE_PGM_RSRC2:TGID_Z_EN: 0
; COMPUTE_PGM_RSRC2:TIDIG_COMP_CNT: 0
; COMPUTE_PGM_RSRC3_GFX90A:ACCUM_OFFSET: 9
; COMPUTE_PGM_RSRC3_GFX90A:TG_SPLIT: 0
	.section	.text._ZN4vllm42fused_add_rms_norm_static_fp8_quant_kernelIN3c108BFloat16ELi8ENS1_13Float8_e4m3fnEEENSt9enable_ifIXaagtT0_Li0Esr12_typeConvertIT_EE6existsEvE4typeEPT1_PS5_iSA_PKS5_PKffii,"axG",@progbits,_ZN4vllm42fused_add_rms_norm_static_fp8_quant_kernelIN3c108BFloat16ELi8ENS1_13Float8_e4m3fnEEENSt9enable_ifIXaagtT0_Li0Esr12_typeConvertIT_EE6existsEvE4typeEPT1_PS5_iSA_PKS5_PKffii,comdat
	.protected	_ZN4vllm42fused_add_rms_norm_static_fp8_quant_kernelIN3c108BFloat16ELi8ENS1_13Float8_e4m3fnEEENSt9enable_ifIXaagtT0_Li0Esr12_typeConvertIT_EE6existsEvE4typeEPT1_PS5_iSA_PKS5_PKffii ; -- Begin function _ZN4vllm42fused_add_rms_norm_static_fp8_quant_kernelIN3c108BFloat16ELi8ENS1_13Float8_e4m3fnEEENSt9enable_ifIXaagtT0_Li0Esr12_typeConvertIT_EE6existsEvE4typeEPT1_PS5_iSA_PKS5_PKffii
	.globl	_ZN4vllm42fused_add_rms_norm_static_fp8_quant_kernelIN3c108BFloat16ELi8ENS1_13Float8_e4m3fnEEENSt9enable_ifIXaagtT0_Li0Esr12_typeConvertIT_EE6existsEvE4typeEPT1_PS5_iSA_PKS5_PKffii
	.p2align	8
	.type	_ZN4vllm42fused_add_rms_norm_static_fp8_quant_kernelIN3c108BFloat16ELi8ENS1_13Float8_e4m3fnEEENSt9enable_ifIXaagtT0_Li0Esr12_typeConvertIT_EE6existsEvE4typeEPT1_PS5_iSA_PKS5_PKffii,@function
_ZN4vllm42fused_add_rms_norm_static_fp8_quant_kernelIN3c108BFloat16ELi8ENS1_13Float8_e4m3fnEEENSt9enable_ifIXaagtT0_Li0Esr12_typeConvertIT_EE6existsEvE4typeEPT1_PS5_iSA_PKS5_PKffii: ; @_ZN4vllm42fused_add_rms_norm_static_fp8_quant_kernelIN3c108BFloat16ELi8ENS1_13Float8_e4m3fnEEENSt9enable_ifIXaagtT0_Li0Esr12_typeConvertIT_EE6existsEvE4typeEPT1_PS5_iSA_PKS5_PKffii
; %bb.0:
	s_load_dword s18, s[0:1], 0x38
	s_load_dwordx2 s[6:7], s[0:1], 0x18
                                        ; implicit-def: $sgpr12
	s_waitcnt lgkmcnt(0)
	s_ashr_i32 s3, s18, 31
	s_lshr_b32 s3, s3, 29
	s_add_i32 s3, s18, s3
	s_ashr_i32 s16, s3, 3
	v_cmp_gt_i32_e64 s[4:5], s16, v0
	v_cmp_le_i32_e32 vcc, s16, v0
                                        ; implicit-def: $sgpr3
	s_and_saveexec_b64 s[8:9], vcc
	s_xor_b64 s[8:9], exec, s[8:9]
	s_cbranch_execz .LBB34_2
; %bb.1:
	s_load_dword s3, s[0:1], 0x4c
	s_mov_b32 s12, 0
	s_waitcnt lgkmcnt(0)
	s_and_b32 s3, s3, 0xffff
.LBB34_2:
	s_or_saveexec_b64 s[8:9], s[8:9]
	s_load_dwordx2 s[10:11], s[0:1], 0x28
	v_mov_b32_e32 v1, s12
	v_mov_b32_e32 v10, s3
	s_mul_i32 s17, s16, s2
	s_xor_b64 exec, exec, s[8:9]
	s_cbranch_execz .LBB34_38
; %bb.3:
	s_load_dword s3, s[0:1], 0x10
	s_load_dword s19, s[0:1], 0x4c
	s_load_dwordx2 s[12:13], s[0:1], 0x8
	s_mov_b64 s[14:15], 0
	v_mov_b32_e32 v10, 0
	s_waitcnt lgkmcnt(0)
	s_ashr_i32 s20, s3, 31
	s_lshr_b32 s20, s20, 29
	s_add_i32 s3, s3, s20
	s_ashr_i32 s20, s3, 3
	s_and_b32 s19, s19, 0xffff
	s_mul_i32 s20, s20, s2
	s_mov_b32 s21, 0x7f800000
	s_movk_i32 s22, 0x7fff
	s_mov_b32 s23, 0x7060302
	v_mov_b32_e32 v1, 0
	v_mov_b32_e32 v11, v0
	s_branch .LBB34_5
.LBB34_4:                               ;   in Loop: Header=BB34_5 Depth=1
	s_or_b64 exec, exec, s[2:3]
	v_and_b32_e32 v17, 0xffff0000, v8
	v_and_b32_e32 v16, 0xffff0000, v13
	;; [unrolled: 1-line block ×4, first 2 shown]
	v_pk_mul_f32 v[16:17], v[16:17], v[16:17]
	v_and_b32_e32 v19, 0xffff0000, v5
	v_and_b32_e32 v18, 0xffff0000, v4
	v_pk_fma_f32 v[2:3], v[2:3], v[2:3], v[16:17]
	v_and_b32_e32 v17, 0xffff0000, v15
	v_and_b32_e32 v16, 0xffff0000, v9
	v_pk_mul_f32 v[18:19], v[18:19], v[18:19]
	v_add_f32_e32 v2, v2, v3
	v_pk_fma_f32 v[16:17], v[16:17], v[16:17], v[18:19]
	v_add_u32_e32 v11, s19, v11
	v_add_f32_e32 v2, v2, v16
	v_add_f32_e32 v2, v2, v17
	v_cmp_le_i32_e32 vcc, s16, v11
	v_add_f32_e32 v1, v1, v2
	v_perm_b32 v5, v5, v15, s23
	v_perm_b32 v4, v4, v9, s23
	;; [unrolled: 1-line block ×4, first 2 shown]
	s_or_b64 s[14:15], vcc, s[14:15]
	global_store_dwordx4 v[6:7], v[2:5], off
	s_andn2_b64 exec, exec, s[14:15]
	s_cbranch_execz .LBB34_37
.LBB34_5:                               ; =>This Inner Loop Header: Depth=1
	v_add_u32_e32 v4, s17, v11
	v_add_u32_e32 v2, s20, v11
	v_ashrrev_i32_e32 v5, 31, v4
	v_ashrrev_i32_e32 v3, 31, v2
	v_lshl_add_u64 v[6:7], v[4:5], 4, s[6:7]
	v_lshl_add_u64 v[8:9], v[2:3], 4, s[12:13]
	global_load_dword v13, v[6:7], off
	global_load_dwordx4 v[2:5], v[8:9], off
	s_waitcnt vmcnt(1)
	v_lshlrev_b32_e32 v8, 16, v13
	s_waitcnt vmcnt(0)
	v_lshlrev_b32_e32 v12, 16, v2
	v_pk_add_f32 v[8:9], v[8:9], v[12:13] op_sel_hi:[0,1]
	v_and_b32_e32 v9, 0x7f800000, v8
	v_cmp_ne_u32_e32 vcc, s21, v9
                                        ; implicit-def: $vgpr12
	s_and_saveexec_b64 s[2:3], vcc
	s_xor_b64 s[2:3], exec, s[2:3]
; %bb.6:                                ;   in Loop: Header=BB34_5 Depth=1
	v_bfe_u32 v9, v8, 16, 1
	v_add3_u32 v12, v8, v9, s22
                                        ; implicit-def: $vgpr8_vgpr9
; %bb.7:                                ;   in Loop: Header=BB34_5 Depth=1
	s_andn2_saveexec_b64 s[2:3], s[2:3]
; %bb.8:                                ;   in Loop: Header=BB34_5 Depth=1
	v_or_b32_e32 v9, 0x10000, v8
	v_cmp_eq_u32_sdwa vcc, v8, v10 src0_sel:WORD_0 src1_sel:DWORD
	s_nop 1
	v_cndmask_b32_e32 v12, v9, v8, vcc
; %bb.9:                                ;   in Loop: Header=BB34_5 Depth=1
	s_or_b64 exec, exec, s[2:3]
	v_and_b32_e32 v8, 0xffff0000, v13
	v_and_b32_e32 v2, 0xffff0000, v2
	v_pk_add_f32 v[8:9], v[8:9], v[2:3] op_sel_hi:[0,1]
	v_and_b32_e32 v2, 0x7f800000, v8
	v_cmp_ne_u32_e32 vcc, s21, v2
                                        ; implicit-def: $vgpr13
	s_and_saveexec_b64 s[2:3], vcc
	s_xor_b64 s[2:3], exec, s[2:3]
; %bb.10:                               ;   in Loop: Header=BB34_5 Depth=1
	v_bfe_u32 v2, v8, 16, 1
	v_add3_u32 v13, v8, v2, s22
                                        ; implicit-def: $vgpr8_vgpr9
; %bb.11:                               ;   in Loop: Header=BB34_5 Depth=1
	s_andn2_saveexec_b64 s[2:3], s[2:3]
; %bb.12:                               ;   in Loop: Header=BB34_5 Depth=1
	v_or_b32_e32 v2, 0x10000, v8
	v_cmp_eq_u32_sdwa vcc, v8, v10 src0_sel:WORD_0 src1_sel:DWORD
	s_nop 1
	v_cndmask_b32_e32 v13, v2, v8, vcc
; %bb.13:                               ;   in Loop: Header=BB34_5 Depth=1
	s_or_b64 exec, exec, s[2:3]
	global_load_dword v2, v[6:7], off offset:4
	v_lshlrev_b32_e32 v14, 16, v3
	s_waitcnt vmcnt(0)
	v_lshlrev_b32_e32 v8, 16, v2
	v_pk_add_f32 v[8:9], v[8:9], v[14:15] op_sel_hi:[0,1]
	v_and_b32_e32 v9, 0x7f800000, v8
	v_cmp_ne_u32_e32 vcc, s21, v9
                                        ; implicit-def: $vgpr14
	s_and_saveexec_b64 s[2:3], vcc
	s_xor_b64 s[2:3], exec, s[2:3]
; %bb.14:                               ;   in Loop: Header=BB34_5 Depth=1
	v_bfe_u32 v9, v8, 16, 1
	v_add3_u32 v14, v8, v9, s22
                                        ; implicit-def: $vgpr8_vgpr9
; %bb.15:                               ;   in Loop: Header=BB34_5 Depth=1
	s_andn2_saveexec_b64 s[2:3], s[2:3]
; %bb.16:                               ;   in Loop: Header=BB34_5 Depth=1
	v_or_b32_e32 v9, 0x10000, v8
	v_cmp_eq_u32_sdwa vcc, v8, v10 src0_sel:WORD_0 src1_sel:DWORD
	s_nop 1
	v_cndmask_b32_e32 v14, v9, v8, vcc
; %bb.17:                               ;   in Loop: Header=BB34_5 Depth=1
	s_or_b64 exec, exec, s[2:3]
	v_and_b32_e32 v2, 0xffff0000, v2
	v_and_b32_e32 v8, 0xffff0000, v3
	v_pk_add_f32 v[2:3], v[2:3], v[8:9] op_sel_hi:[0,1]
	v_and_b32_e32 v3, 0x7f800000, v2
	v_cmp_ne_u32_e32 vcc, s21, v3
                                        ; implicit-def: $vgpr8
	s_and_saveexec_b64 s[2:3], vcc
	s_xor_b64 s[2:3], exec, s[2:3]
; %bb.18:                               ;   in Loop: Header=BB34_5 Depth=1
	v_bfe_u32 v3, v2, 16, 1
	v_add3_u32 v8, v2, v3, s22
                                        ; implicit-def: $vgpr2_vgpr3
; %bb.19:                               ;   in Loop: Header=BB34_5 Depth=1
	s_andn2_saveexec_b64 s[2:3], s[2:3]
; %bb.20:                               ;   in Loop: Header=BB34_5 Depth=1
	v_or_b32_e32 v3, 0x10000, v2
	v_cmp_eq_u32_sdwa vcc, v2, v10 src0_sel:WORD_0 src1_sel:DWORD
	s_nop 1
	v_cndmask_b32_e32 v8, v3, v2, vcc
; %bb.21:                               ;   in Loop: Header=BB34_5 Depth=1
	s_or_b64 exec, exec, s[2:3]
	global_load_dword v15, v[6:7], off offset:8
	v_lshlrev_b32_e32 v16, 16, v4
                                        ; implicit-def: $vgpr9
	s_waitcnt vmcnt(0)
	v_lshlrev_b32_e32 v2, 16, v15
	v_pk_add_f32 v[2:3], v[2:3], v[16:17] op_sel_hi:[0,1]
	v_and_b32_e32 v3, 0x7f800000, v2
	v_cmp_ne_u32_e32 vcc, s21, v3
	s_and_saveexec_b64 s[2:3], vcc
	s_xor_b64 s[2:3], exec, s[2:3]
; %bb.22:                               ;   in Loop: Header=BB34_5 Depth=1
	v_bfe_u32 v3, v2, 16, 1
	v_add3_u32 v9, v2, v3, s22
                                        ; implicit-def: $vgpr2_vgpr3
; %bb.23:                               ;   in Loop: Header=BB34_5 Depth=1
	s_andn2_saveexec_b64 s[2:3], s[2:3]
; %bb.24:                               ;   in Loop: Header=BB34_5 Depth=1
	v_or_b32_e32 v3, 0x10000, v2
	v_cmp_eq_u32_sdwa vcc, v2, v10 src0_sel:WORD_0 src1_sel:DWORD
	s_nop 1
	v_cndmask_b32_e32 v9, v3, v2, vcc
; %bb.25:                               ;   in Loop: Header=BB34_5 Depth=1
	s_or_b64 exec, exec, s[2:3]
	v_and_b32_e32 v2, 0xffff0000, v15
	v_and_b32_e32 v4, 0xffff0000, v4
	v_pk_add_f32 v[2:3], v[2:3], v[4:5] op_sel_hi:[0,1]
	v_and_b32_e32 v3, 0x7f800000, v2
	v_cmp_ne_u32_e32 vcc, s21, v3
                                        ; implicit-def: $vgpr4
	s_and_saveexec_b64 s[2:3], vcc
	s_xor_b64 s[2:3], exec, s[2:3]
; %bb.26:                               ;   in Loop: Header=BB34_5 Depth=1
	v_bfe_u32 v3, v2, 16, 1
	v_add3_u32 v4, v2, v3, s22
                                        ; implicit-def: $vgpr2_vgpr3
; %bb.27:                               ;   in Loop: Header=BB34_5 Depth=1
	s_andn2_saveexec_b64 s[2:3], s[2:3]
; %bb.28:                               ;   in Loop: Header=BB34_5 Depth=1
	v_or_b32_e32 v3, 0x10000, v2
	v_cmp_eq_u32_sdwa vcc, v2, v10 src0_sel:WORD_0 src1_sel:DWORD
	s_nop 1
	v_cndmask_b32_e32 v4, v3, v2, vcc
; %bb.29:                               ;   in Loop: Header=BB34_5 Depth=1
	s_or_b64 exec, exec, s[2:3]
	global_load_dword v16, v[6:7], off offset:12
	v_lshlrev_b32_e32 v18, 16, v5
                                        ; implicit-def: $vgpr15
	s_waitcnt vmcnt(0)
	v_lshlrev_b32_e32 v2, 16, v16
	v_pk_add_f32 v[2:3], v[2:3], v[18:19] op_sel_hi:[0,1]
	v_and_b32_e32 v3, 0x7f800000, v2
	v_cmp_ne_u32_e32 vcc, s21, v3
	s_and_saveexec_b64 s[2:3], vcc
	s_xor_b64 s[2:3], exec, s[2:3]
; %bb.30:                               ;   in Loop: Header=BB34_5 Depth=1
	v_bfe_u32 v3, v2, 16, 1
	v_add3_u32 v15, v2, v3, s22
                                        ; implicit-def: $vgpr2_vgpr3
; %bb.31:                               ;   in Loop: Header=BB34_5 Depth=1
	s_andn2_saveexec_b64 s[2:3], s[2:3]
; %bb.32:                               ;   in Loop: Header=BB34_5 Depth=1
	v_or_b32_e32 v3, 0x10000, v2
	v_cmp_eq_u32_sdwa vcc, v2, v10 src0_sel:WORD_0 src1_sel:DWORD
	s_nop 1
	v_cndmask_b32_e32 v15, v3, v2, vcc
; %bb.33:                               ;   in Loop: Header=BB34_5 Depth=1
	s_or_b64 exec, exec, s[2:3]
	v_and_b32_e32 v2, 0xffff0000, v16
	v_and_b32_e32 v16, 0xffff0000, v5
	v_pk_add_f32 v[2:3], v[2:3], v[16:17] op_sel_hi:[0,1]
	v_and_b32_e32 v3, 0x7f800000, v2
	v_cmp_ne_u32_e32 vcc, s21, v3
                                        ; implicit-def: $vgpr5
	s_and_saveexec_b64 s[2:3], vcc
	s_xor_b64 s[2:3], exec, s[2:3]
; %bb.34:                               ;   in Loop: Header=BB34_5 Depth=1
	v_bfe_u32 v3, v2, 16, 1
	v_add3_u32 v5, v2, v3, s22
                                        ; implicit-def: $vgpr2_vgpr3
; %bb.35:                               ;   in Loop: Header=BB34_5 Depth=1
	s_andn2_saveexec_b64 s[2:3], s[2:3]
	s_cbranch_execz .LBB34_4
; %bb.36:                               ;   in Loop: Header=BB34_5 Depth=1
	v_or_b32_e32 v3, 0x10000, v2
	v_cmp_eq_u32_sdwa vcc, v2, v10 src0_sel:WORD_0 src1_sel:DWORD
	s_nop 1
	v_cndmask_b32_e32 v5, v3, v2, vcc
	s_branch .LBB34_4
.LBB34_37:
	s_or_b64 exec, exec, s[14:15]
	v_mov_b32_e32 v10, s19
.LBB34_38:
	s_or_b64 exec, exec, s[8:9]
	v_mbcnt_lo_u32_b32 v2, -1, 0
	v_mbcnt_hi_u32_b32 v2, -1, v2
	v_and_b32_e32 v3, 63, v2
	v_cmp_ne_u32_e32 vcc, 63, v3
	v_and_b32_e32 v5, 0x3c0, v0
	v_sub_u32_e64 v5, v10, v5 clamp
	v_addc_co_u32_e32 v4, vcc, 0, v2, vcc
	v_lshlrev_b32_e32 v4, 2, v4
	ds_bpermute_b32 v4, v4, v1
	v_add_u32_e32 v6, 1, v2
	v_cmp_lt_u32_e32 vcc, v6, v5
	v_add_u32_e32 v6, 2, v2
	s_load_dwordx2 s[8:9], s[0:1], 0x0
	s_load_dwordx2 s[12:13], s[0:1], 0x20
	s_waitcnt lgkmcnt(0)
	v_add_f32_e32 v4, v1, v4
	v_cndmask_b32_e32 v1, v1, v4, vcc
	v_cmp_gt_u32_e32 vcc, 62, v3
	s_nop 1
	v_cndmask_b32_e64 v4, 0, 1, vcc
	v_lshlrev_b32_e32 v4, 1, v4
	v_add_lshl_u32 v4, v4, v2, 2
	ds_bpermute_b32 v4, v4, v1
	v_cmp_lt_u32_e32 vcc, v6, v5
	v_add_u32_e32 v6, 4, v2
	s_waitcnt lgkmcnt(0)
	v_add_f32_e32 v4, v1, v4
	v_cndmask_b32_e32 v1, v1, v4, vcc
	v_cmp_gt_u32_e32 vcc, 60, v3
	s_nop 1
	v_cndmask_b32_e64 v4, 0, 1, vcc
	v_lshlrev_b32_e32 v4, 2, v4
	v_add_lshl_u32 v4, v4, v2, 2
	ds_bpermute_b32 v4, v4, v1
	v_cmp_lt_u32_e32 vcc, v6, v5
	v_add_u32_e32 v6, 8, v2
	;; [unrolled: 11-line block ×3, first 2 shown]
	s_waitcnt lgkmcnt(0)
	v_add_f32_e32 v4, v1, v4
	v_cndmask_b32_e32 v1, v1, v4, vcc
	v_cmp_gt_u32_e32 vcc, 48, v3
	s_nop 1
	v_cndmask_b32_e64 v4, 0, 1, vcc
	v_lshlrev_b32_e32 v4, 4, v4
	v_add_lshl_u32 v4, v4, v2, 2
	ds_bpermute_b32 v4, v4, v1
	v_cmp_lt_u32_e32 vcc, v6, v5
	s_waitcnt lgkmcnt(0)
	v_add_f32_e32 v4, v1, v4
	v_cndmask_b32_e32 v1, v1, v4, vcc
	v_cmp_gt_u32_e32 vcc, 32, v3
	v_add_u32_e32 v4, 32, v2
	s_nop 0
	v_cndmask_b32_e64 v3, 0, 1, vcc
	v_lshlrev_b32_e32 v3, 5, v3
	v_add_lshl_u32 v3, v3, v2, 2
	ds_bpermute_b32 v3, v3, v1
	v_cmp_lt_u32_e32 vcc, v4, v5
	s_waitcnt lgkmcnt(0)
	v_add_f32_e32 v3, v1, v3
	v_cndmask_b32_e32 v1, v1, v3, vcc
	v_cmp_eq_u32_e32 vcc, 0, v2
	s_and_saveexec_b64 s[2:3], vcc
	s_cbranch_execz .LBB34_40
; %bb.39:
	v_lshrrev_b32_e32 v3, 4, v0
	v_and_b32_e32 v3, 60, v3
	ds_write_b32 v3, v1
.LBB34_40:
	s_or_b64 exec, exec, s[2:3]
	v_cmp_gt_u32_e32 vcc, 16, v0
	s_waitcnt lgkmcnt(0)
	s_barrier
	s_and_saveexec_b64 s[14:15], vcc
	s_cbranch_execz .LBB34_42
; %bb.41:
	v_lshlrev_b32_e32 v1, 2, v2
	ds_read_b32 v1, v1
	v_and_b32_e32 v3, 15, v2
	v_cmp_ne_u32_e32 vcc, 15, v3
	v_add_u32_e32 v5, 63, v10
	v_lshrrev_b32_e32 v5, 6, v5
	v_addc_co_u32_e32 v4, vcc, 0, v2, vcc
	v_lshlrev_b32_e32 v4, 2, v4
	s_waitcnt lgkmcnt(0)
	ds_bpermute_b32 v4, v4, v1
	v_add_u32_e32 v6, 1, v3
	v_cmp_gt_u32_e64 s[2:3], 14, v3
	v_cmp_lt_u32_e32 vcc, v6, v5
	v_add_u32_e32 v7, 2, v3
	v_cndmask_b32_e64 v6, 0, 1, s[2:3]
	s_waitcnt lgkmcnt(0)
	v_add_f32_e32 v4, v1, v4
	v_lshlrev_b32_e32 v6, 1, v6
	v_cndmask_b32_e32 v4, v1, v4, vcc
	v_add_lshl_u32 v6, v6, v2, 2
	ds_bpermute_b32 v6, v6, v4
	v_cmp_lt_u32_e64 s[2:3], v7, v5
	v_add_u32_e32 v7, 4, v3
	s_waitcnt lgkmcnt(0)
	v_add_f32_e32 v6, v4, v6
	v_cndmask_b32_e64 v4, v4, v6, s[2:3]
	v_cmp_gt_u32_e64 s[2:3], 12, v3
	s_nop 1
	v_cndmask_b32_e64 v6, 0, 1, s[2:3]
	v_lshlrev_b32_e32 v6, 2, v6
	v_add_lshl_u32 v6, v6, v2, 2
	ds_bpermute_b32 v6, v6, v4
	v_cmp_lt_u32_e64 s[2:3], v7, v5
	s_waitcnt lgkmcnt(0)
	v_add_f32_e32 v6, v4, v6
	v_cndmask_b32_e64 v4, v4, v6, s[2:3]
	v_cmp_gt_u32_e64 s[2:3], 8, v3
	v_add_u32_e32 v3, 8, v3
	s_nop 0
	v_cndmask_b32_e64 v6, 0, 1, s[2:3]
	v_lshlrev_b32_e32 v6, 3, v6
	v_add_lshl_u32 v2, v6, v2, 2
	ds_bpermute_b32 v2, v2, v4
	v_cmp_lt_u32_e64 s[2:3], v3, v5
	s_waitcnt lgkmcnt(0)
	v_add_f32_e32 v2, v4, v2
	v_cndmask_b32_e64 v2, v4, v2, s[2:3]
	v_cndmask_b32_e32 v1, v1, v2, vcc
.LBB34_42:
	s_or_b64 exec, exec, s[14:15]
	v_cmp_eq_u32_e32 vcc, 0, v0
	s_and_saveexec_b64 s[2:3], vcc
	s_cbranch_execz .LBB34_44
; %bb.43:
	v_cvt_f32_i32_e32 v2, s18
	s_load_dword s14, s[0:1], 0x30
	v_div_scale_f32 v3, s[0:1], v2, v2, v1
	v_rcp_f32_e32 v4, v3
	v_div_scale_f32 v5, vcc, v1, v2, v1
	s_mov_b32 s0, 0x800000
	v_fma_f32 v6, -v3, v4, 1.0
	v_fmac_f32_e32 v4, v6, v4
	v_mul_f32_e32 v6, v5, v4
	v_fma_f32 v7, -v3, v6, v5
	v_fmac_f32_e32 v6, v7, v4
	v_fma_f32 v3, -v3, v6, v5
	v_div_fmas_f32 v3, v3, v4, v6
	v_div_fixup_f32 v1, v3, v2, v1
	s_waitcnt lgkmcnt(0)
	v_add_f32_e32 v1, s14, v1
	v_mul_f32_e32 v2, 0x4b800000, v1
	v_cmp_gt_f32_e32 vcc, s0, v1
	s_nop 1
	v_cndmask_b32_e32 v1, v1, v2, vcc
	v_rsq_f32_e32 v1, v1
	s_nop 0
	v_mul_f32_e32 v2, 0x45800000, v1
	v_cndmask_b32_e32 v1, v1, v2, vcc
	v_mov_b32_e32 v2, 0
	ds_write_b32 v2, v1 offset:64
.LBB34_44:
	s_or_b64 exec, exec, s[2:3]
	s_waitcnt lgkmcnt(0)
	s_barrier
	s_and_saveexec_b64 s[0:1], s[4:5]
	s_cbranch_execz .LBB34_159
; %bb.45:
	s_load_dword s2, s[10:11], 0x0
	v_mov_b32_e32 v13, 0
	ds_read_b32 v1, v13 offset:64
	v_lshlrev_b32_e32 v12, 4, v0
	v_mov_b32_e32 v11, v13
	s_waitcnt lgkmcnt(0)
	v_div_scale_f32 v2, s[0:1], s2, s2, 1.0
	v_rcp_f32_e32 v3, v2
	v_div_scale_f32 v4, vcc, 1.0, s2, 1.0
	v_add_lshl_u32 v14, v0, s17, 3
	v_fma_f32 v5, -v2, v3, 1.0
	v_fmac_f32_e32 v3, v5, v3
	v_mul_f32_e32 v5, v4, v3
	v_fma_f32 v6, -v2, v5, v4
	v_fmac_f32_e32 v5, v6, v3
	v_fma_f32 v2, -v2, v5, v4
	v_div_fmas_f32 v2, v2, v3, v5
	v_div_fixup_f32 v22, v2, s2, 1.0
	v_lshl_add_u64 v[2:3], v[12:13], 0, s[12:13]
	v_lshlrev_b32_e32 v23, 3, v10
	v_lshl_add_u64 v[16:17], v[2:3], 0, 14
	v_lshlrev_b64 v[18:19], 4, v[10:11]
	s_mov_b64 s[0:1], 0
	s_mov_b32 s10, 0x7f800000
	s_movk_i32 s11, 0x7fff
	s_mov_b32 s12, 0x43f00000
	s_mov_b32 s13, 0x3c7fffff
	s_mov_b32 s14, 0x407ffff
	s_mov_b32 s15, 0x46800000
	s_movk_i32 s18, 0x80
	s_branch .LBB34_48
.LBB34_46:                              ;   in Loop: Header=BB34_48 Depth=1
	s_or_b64 exec, exec, s[4:5]
.LBB34_47:                              ;   in Loop: Header=BB34_48 Depth=1
	s_or_b64 exec, exec, s[2:3]
	v_add_u32_e32 v0, v0, v10
	v_lshrrev_b32_e32 v2, 24, v2
	v_cmp_le_i32_e32 vcc, s16, v0
	v_and_or_b32 v2, v2, s18, v3
	v_add_u32_e32 v14, v14, v23
	s_or_b64 s[0:1], vcc, s[0:1]
	v_lshl_add_u64 v[16:17], v[16:17], 0, v[18:19]
	global_store_byte v[20:21], v2, off offset:7
	s_andn2_b64 exec, exec, s[0:1]
	s_cbranch_execz .LBB34_159
.LBB34_48:                              ; =>This Inner Loop Header: Depth=1
	v_add_u32_e32 v2, s17, v0
	v_ashrrev_i32_e32 v3, 31, v2
	v_lshl_add_u64 v[20:21], v[2:3], 4, s[6:7]
	global_load_dwordx4 v[6:9], v[20:21], off
	global_load_dwordx4 v[2:5], v[16:17], off offset:-14
	s_waitcnt vmcnt(1)
	v_lshlrev_b32_e32 v11, 16, v6
	v_mul_f32_e32 v11, v1, v11
	v_and_b32_e32 v12, 0x7f800000, v11
	v_cmp_ne_u32_e32 vcc, s10, v12
                                        ; implicit-def: $vgpr12
	s_and_saveexec_b64 s[2:3], vcc
	s_xor_b64 s[2:3], exec, s[2:3]
; %bb.49:                               ;   in Loop: Header=BB34_48 Depth=1
	v_bfe_u32 v12, v11, 16, 1
	v_add3_u32 v12, v11, v12, s11
                                        ; implicit-def: $vgpr11
; %bb.50:                               ;   in Loop: Header=BB34_48 Depth=1
	s_andn2_saveexec_b64 s[2:3], s[2:3]
; %bb.51:                               ;   in Loop: Header=BB34_48 Depth=1
	v_or_b32_e32 v12, 0x10000, v11
	v_cmp_eq_u32_sdwa vcc, v11, v13 src0_sel:WORD_0 src1_sel:DWORD
	s_nop 1
	v_cndmask_b32_e32 v12, v12, v11, vcc
; %bb.52:                               ;   in Loop: Header=BB34_48 Depth=1
	s_or_b64 exec, exec, s[2:3]
	v_and_b32_e32 v11, 0xffff0000, v12
	s_waitcnt vmcnt(0)
	v_lshlrev_b32_e32 v12, 16, v2
	v_mul_f32_e32 v11, v11, v12
	v_and_b32_e32 v12, 0x7f800000, v11
	v_cmp_ne_u32_e32 vcc, s10, v12
                                        ; implicit-def: $vgpr12
	s_and_saveexec_b64 s[2:3], vcc
	s_xor_b64 s[2:3], exec, s[2:3]
; %bb.53:                               ;   in Loop: Header=BB34_48 Depth=1
	v_bfe_u32 v12, v11, 16, 1
	v_add3_u32 v12, v11, v12, s11
                                        ; implicit-def: $vgpr11
; %bb.54:                               ;   in Loop: Header=BB34_48 Depth=1
	s_andn2_saveexec_b64 s[2:3], s[2:3]
; %bb.55:                               ;   in Loop: Header=BB34_48 Depth=1
	v_or_b32_e32 v12, 0x10000, v11
	v_cmp_eq_u32_sdwa vcc, v11, v13 src0_sel:WORD_0 src1_sel:DWORD
	s_nop 1
	v_cndmask_b32_e32 v12, v12, v11, vcc
; %bb.56:                               ;   in Loop: Header=BB34_48 Depth=1
	s_or_b64 exec, exec, s[2:3]
	v_and_b32_e32 v11, 0xffff0000, v12
	v_mul_f32_e32 v11, v22, v11
	v_min_f32_e32 v11, 0x43e00000, v11
	v_max_f32_e32 v11, 0xc3e00000, v11
	v_and_b32_e32 v15, 0x7fffffff, v11
	v_cmp_gt_u32_e32 vcc, s12, v15
	v_mov_b32_e32 v12, 0x7f
	s_and_saveexec_b64 s[2:3], vcc
	s_cbranch_execz .LBB34_62
; %bb.57:                               ;   in Loop: Header=BB34_48 Depth=1
	v_cmp_lt_u32_e32 vcc, s13, v15
                                        ; implicit-def: $vgpr12
	s_and_saveexec_b64 s[4:5], vcc
	s_xor_b64 s[4:5], exec, s[4:5]
; %bb.58:                               ;   in Loop: Header=BB34_48 Depth=1
	v_bfe_u32 v12, v11, 20, 1
	v_add3_u32 v12, v11, v12, s14
	v_lshrrev_b32_e32 v12, 20, v12
; %bb.59:                               ;   in Loop: Header=BB34_48 Depth=1
	s_andn2_saveexec_b64 s[4:5], s[4:5]
; %bb.60:                               ;   in Loop: Header=BB34_48 Depth=1
	v_add_f32_e64 v12, |v11|, s15
; %bb.61:                               ;   in Loop: Header=BB34_48 Depth=1
	s_or_b64 exec, exec, s[4:5]
.LBB34_62:                              ;   in Loop: Header=BB34_48 Depth=1
	s_or_b64 exec, exec, s[2:3]
	v_lshrrev_b32_e32 v11, 24, v11
	v_ashrrev_i32_e32 v15, 31, v14
	v_and_b32_e32 v6, 0xffff0000, v6
	v_and_or_b32 v11, v11, s18, v12
	v_lshl_add_u64 v[20:21], s[8:9], 0, v[14:15]
	v_mul_f32_e32 v6, v1, v6
	global_store_byte v[20:21], v11, off
	v_and_b32_e32 v11, 0x7f800000, v6
	v_cmp_ne_u32_e32 vcc, s10, v11
                                        ; implicit-def: $vgpr11
	s_and_saveexec_b64 s[2:3], vcc
	s_xor_b64 s[2:3], exec, s[2:3]
; %bb.63:                               ;   in Loop: Header=BB34_48 Depth=1
	v_bfe_u32 v11, v6, 16, 1
	v_add3_u32 v11, v6, v11, s11
                                        ; implicit-def: $vgpr6
; %bb.64:                               ;   in Loop: Header=BB34_48 Depth=1
	s_andn2_saveexec_b64 s[2:3], s[2:3]
; %bb.65:                               ;   in Loop: Header=BB34_48 Depth=1
	v_or_b32_e32 v11, 0x10000, v6
	v_cmp_eq_u32_sdwa vcc, v6, v13 src0_sel:WORD_0 src1_sel:DWORD
	s_nop 1
	v_cndmask_b32_e32 v11, v11, v6, vcc
; %bb.66:                               ;   in Loop: Header=BB34_48 Depth=1
	s_or_b64 exec, exec, s[2:3]
	v_and_b32_e32 v6, 0xffff0000, v11
	v_and_b32_e32 v2, 0xffff0000, v2
	v_mul_f32_e32 v2, v6, v2
	v_and_b32_e32 v6, 0x7f800000, v2
	v_cmp_ne_u32_e32 vcc, s10, v6
                                        ; implicit-def: $vgpr6
	s_and_saveexec_b64 s[2:3], vcc
	s_xor_b64 s[2:3], exec, s[2:3]
; %bb.67:                               ;   in Loop: Header=BB34_48 Depth=1
	v_bfe_u32 v6, v2, 16, 1
	v_add3_u32 v6, v2, v6, s11
                                        ; implicit-def: $vgpr2
; %bb.68:                               ;   in Loop: Header=BB34_48 Depth=1
	s_andn2_saveexec_b64 s[2:3], s[2:3]
; %bb.69:                               ;   in Loop: Header=BB34_48 Depth=1
	v_or_b32_e32 v6, 0x10000, v2
	v_cmp_eq_u32_sdwa vcc, v2, v13 src0_sel:WORD_0 src1_sel:DWORD
	s_nop 1
	v_cndmask_b32_e32 v6, v6, v2, vcc
; %bb.70:                               ;   in Loop: Header=BB34_48 Depth=1
	s_or_b64 exec, exec, s[2:3]
	v_and_b32_e32 v2, 0xffff0000, v6
	v_mul_f32_e32 v2, v22, v2
	v_min_f32_e32 v2, 0x43e00000, v2
	v_max_f32_e32 v2, 0xc3e00000, v2
	v_and_b32_e32 v11, 0x7fffffff, v2
	v_cmp_gt_u32_e32 vcc, s12, v11
	v_mov_b32_e32 v6, 0x7f
	s_and_saveexec_b64 s[2:3], vcc
	s_cbranch_execz .LBB34_76
; %bb.71:                               ;   in Loop: Header=BB34_48 Depth=1
	v_cmp_lt_u32_e32 vcc, s13, v11
                                        ; implicit-def: $vgpr6
	s_and_saveexec_b64 s[4:5], vcc
	s_xor_b64 s[4:5], exec, s[4:5]
; %bb.72:                               ;   in Loop: Header=BB34_48 Depth=1
	v_bfe_u32 v6, v2, 20, 1
	v_add3_u32 v6, v2, v6, s14
	v_lshrrev_b32_e32 v6, 20, v6
; %bb.73:                               ;   in Loop: Header=BB34_48 Depth=1
	s_andn2_saveexec_b64 s[4:5], s[4:5]
; %bb.74:                               ;   in Loop: Header=BB34_48 Depth=1
	v_add_f32_e64 v6, |v2|, s15
; %bb.75:                               ;   in Loop: Header=BB34_48 Depth=1
	s_or_b64 exec, exec, s[4:5]
.LBB34_76:                              ;   in Loop: Header=BB34_48 Depth=1
	s_or_b64 exec, exec, s[2:3]
	v_lshrrev_b32_e32 v2, 24, v2
	v_and_or_b32 v2, v2, s18, v6
	global_store_byte v[20:21], v2, off offset:1
	v_lshlrev_b32_e32 v2, 16, v7
	v_mul_f32_e32 v2, v1, v2
	v_and_b32_e32 v6, 0x7f800000, v2
	v_cmp_ne_u32_e32 vcc, s10, v6
                                        ; implicit-def: $vgpr6
	s_and_saveexec_b64 s[2:3], vcc
	s_xor_b64 s[2:3], exec, s[2:3]
; %bb.77:                               ;   in Loop: Header=BB34_48 Depth=1
	v_bfe_u32 v6, v2, 16, 1
	v_add3_u32 v6, v2, v6, s11
                                        ; implicit-def: $vgpr2
; %bb.78:                               ;   in Loop: Header=BB34_48 Depth=1
	s_andn2_saveexec_b64 s[2:3], s[2:3]
; %bb.79:                               ;   in Loop: Header=BB34_48 Depth=1
	v_or_b32_e32 v6, 0x10000, v2
	v_cmp_eq_u32_sdwa vcc, v2, v13 src0_sel:WORD_0 src1_sel:DWORD
	s_nop 1
	v_cndmask_b32_e32 v6, v6, v2, vcc
; %bb.80:                               ;   in Loop: Header=BB34_48 Depth=1
	s_or_b64 exec, exec, s[2:3]
	v_and_b32_e32 v2, 0xffff0000, v6
	v_lshlrev_b32_e32 v6, 16, v3
	v_mul_f32_e32 v2, v2, v6
	v_and_b32_e32 v6, 0x7f800000, v2
	v_cmp_ne_u32_e32 vcc, s10, v6
                                        ; implicit-def: $vgpr6
	s_and_saveexec_b64 s[2:3], vcc
	s_xor_b64 s[2:3], exec, s[2:3]
; %bb.81:                               ;   in Loop: Header=BB34_48 Depth=1
	v_bfe_u32 v6, v2, 16, 1
	v_add3_u32 v6, v2, v6, s11
                                        ; implicit-def: $vgpr2
; %bb.82:                               ;   in Loop: Header=BB34_48 Depth=1
	s_andn2_saveexec_b64 s[2:3], s[2:3]
; %bb.83:                               ;   in Loop: Header=BB34_48 Depth=1
	v_or_b32_e32 v6, 0x10000, v2
	v_cmp_eq_u32_sdwa vcc, v2, v13 src0_sel:WORD_0 src1_sel:DWORD
	s_nop 1
	v_cndmask_b32_e32 v6, v6, v2, vcc
; %bb.84:                               ;   in Loop: Header=BB34_48 Depth=1
	s_or_b64 exec, exec, s[2:3]
	v_and_b32_e32 v2, 0xffff0000, v6
	v_mul_f32_e32 v2, v22, v2
	v_min_f32_e32 v2, 0x43e00000, v2
	v_max_f32_e32 v2, 0xc3e00000, v2
	v_and_b32_e32 v11, 0x7fffffff, v2
	v_cmp_gt_u32_e32 vcc, s12, v11
	v_mov_b32_e32 v6, 0x7f
	s_and_saveexec_b64 s[2:3], vcc
	s_cbranch_execz .LBB34_90
; %bb.85:                               ;   in Loop: Header=BB34_48 Depth=1
	v_cmp_lt_u32_e32 vcc, s13, v11
                                        ; implicit-def: $vgpr6
	s_and_saveexec_b64 s[4:5], vcc
	s_xor_b64 s[4:5], exec, s[4:5]
; %bb.86:                               ;   in Loop: Header=BB34_48 Depth=1
	v_bfe_u32 v6, v2, 20, 1
	v_add3_u32 v6, v2, v6, s14
	v_lshrrev_b32_e32 v6, 20, v6
; %bb.87:                               ;   in Loop: Header=BB34_48 Depth=1
	s_andn2_saveexec_b64 s[4:5], s[4:5]
; %bb.88:                               ;   in Loop: Header=BB34_48 Depth=1
	v_add_f32_e64 v6, |v2|, s15
; %bb.89:                               ;   in Loop: Header=BB34_48 Depth=1
	s_or_b64 exec, exec, s[4:5]
.LBB34_90:                              ;   in Loop: Header=BB34_48 Depth=1
	s_or_b64 exec, exec, s[2:3]
	v_lshrrev_b32_e32 v2, 24, v2
	v_and_or_b32 v2, v2, s18, v6
	global_store_byte v[20:21], v2, off offset:2
	v_and_b32_e32 v2, 0xffff0000, v7
	v_mul_f32_e32 v2, v1, v2
	v_and_b32_e32 v6, 0x7f800000, v2
	v_cmp_ne_u32_e32 vcc, s10, v6
                                        ; implicit-def: $vgpr6
	s_and_saveexec_b64 s[2:3], vcc
	s_xor_b64 s[2:3], exec, s[2:3]
; %bb.91:                               ;   in Loop: Header=BB34_48 Depth=1
	v_bfe_u32 v6, v2, 16, 1
	v_add3_u32 v6, v2, v6, s11
                                        ; implicit-def: $vgpr2
; %bb.92:                               ;   in Loop: Header=BB34_48 Depth=1
	s_andn2_saveexec_b64 s[2:3], s[2:3]
; %bb.93:                               ;   in Loop: Header=BB34_48 Depth=1
	v_or_b32_e32 v6, 0x10000, v2
	v_cmp_eq_u32_sdwa vcc, v2, v13 src0_sel:WORD_0 src1_sel:DWORD
	s_nop 1
	v_cndmask_b32_e32 v6, v6, v2, vcc
; %bb.94:                               ;   in Loop: Header=BB34_48 Depth=1
	s_or_b64 exec, exec, s[2:3]
	v_and_b32_e32 v2, 0xffff0000, v6
	v_and_b32_e32 v3, 0xffff0000, v3
	v_mul_f32_e32 v2, v2, v3
	v_and_b32_e32 v3, 0x7f800000, v2
	v_cmp_ne_u32_e32 vcc, s10, v3
                                        ; implicit-def: $vgpr3
	s_and_saveexec_b64 s[2:3], vcc
	s_xor_b64 s[2:3], exec, s[2:3]
; %bb.95:                               ;   in Loop: Header=BB34_48 Depth=1
	v_bfe_u32 v3, v2, 16, 1
	v_add3_u32 v3, v2, v3, s11
                                        ; implicit-def: $vgpr2
; %bb.96:                               ;   in Loop: Header=BB34_48 Depth=1
	s_andn2_saveexec_b64 s[2:3], s[2:3]
; %bb.97:                               ;   in Loop: Header=BB34_48 Depth=1
	v_or_b32_e32 v3, 0x10000, v2
	v_cmp_eq_u32_sdwa vcc, v2, v13 src0_sel:WORD_0 src1_sel:DWORD
	s_nop 1
	v_cndmask_b32_e32 v3, v3, v2, vcc
; %bb.98:                               ;   in Loop: Header=BB34_48 Depth=1
	s_or_b64 exec, exec, s[2:3]
	v_and_b32_e32 v2, 0xffff0000, v3
	v_mul_f32_e32 v2, v22, v2
	v_min_f32_e32 v2, 0x43e00000, v2
	v_max_f32_e32 v2, 0xc3e00000, v2
	v_and_b32_e32 v6, 0x7fffffff, v2
	v_cmp_gt_u32_e32 vcc, s12, v6
	v_mov_b32_e32 v3, 0x7f
	s_and_saveexec_b64 s[2:3], vcc
	s_cbranch_execz .LBB34_104
; %bb.99:                               ;   in Loop: Header=BB34_48 Depth=1
	v_cmp_lt_u32_e32 vcc, s13, v6
                                        ; implicit-def: $vgpr3
	s_and_saveexec_b64 s[4:5], vcc
	s_xor_b64 s[4:5], exec, s[4:5]
; %bb.100:                              ;   in Loop: Header=BB34_48 Depth=1
	v_bfe_u32 v3, v2, 20, 1
	v_add3_u32 v3, v2, v3, s14
	v_lshrrev_b32_e32 v3, 20, v3
; %bb.101:                              ;   in Loop: Header=BB34_48 Depth=1
	s_andn2_saveexec_b64 s[4:5], s[4:5]
; %bb.102:                              ;   in Loop: Header=BB34_48 Depth=1
	v_add_f32_e64 v3, |v2|, s15
; %bb.103:                              ;   in Loop: Header=BB34_48 Depth=1
	s_or_b64 exec, exec, s[4:5]
.LBB34_104:                             ;   in Loop: Header=BB34_48 Depth=1
	s_or_b64 exec, exec, s[2:3]
	v_lshrrev_b32_e32 v2, 24, v2
	v_and_or_b32 v2, v2, s18, v3
	global_store_byte v[20:21], v2, off offset:3
	v_lshlrev_b32_e32 v2, 16, v8
	v_mul_f32_e32 v2, v1, v2
	v_and_b32_e32 v3, 0x7f800000, v2
	v_cmp_ne_u32_e32 vcc, s10, v3
                                        ; implicit-def: $vgpr3
	s_and_saveexec_b64 s[2:3], vcc
	s_xor_b64 s[2:3], exec, s[2:3]
; %bb.105:                              ;   in Loop: Header=BB34_48 Depth=1
	v_bfe_u32 v3, v2, 16, 1
	v_add3_u32 v3, v2, v3, s11
                                        ; implicit-def: $vgpr2
; %bb.106:                              ;   in Loop: Header=BB34_48 Depth=1
	s_andn2_saveexec_b64 s[2:3], s[2:3]
; %bb.107:                              ;   in Loop: Header=BB34_48 Depth=1
	v_or_b32_e32 v3, 0x10000, v2
	v_cmp_eq_u32_sdwa vcc, v2, v13 src0_sel:WORD_0 src1_sel:DWORD
	s_nop 1
	v_cndmask_b32_e32 v3, v3, v2, vcc
; %bb.108:                              ;   in Loop: Header=BB34_48 Depth=1
	s_or_b64 exec, exec, s[2:3]
	v_and_b32_e32 v2, 0xffff0000, v3
	v_lshlrev_b32_e32 v3, 16, v4
	v_mul_f32_e32 v2, v2, v3
	v_and_b32_e32 v3, 0x7f800000, v2
	v_cmp_ne_u32_e32 vcc, s10, v3
                                        ; implicit-def: $vgpr3
	s_and_saveexec_b64 s[2:3], vcc
	s_xor_b64 s[2:3], exec, s[2:3]
; %bb.109:                              ;   in Loop: Header=BB34_48 Depth=1
	v_bfe_u32 v3, v2, 16, 1
	v_add3_u32 v3, v2, v3, s11
                                        ; implicit-def: $vgpr2
; %bb.110:                              ;   in Loop: Header=BB34_48 Depth=1
	s_andn2_saveexec_b64 s[2:3], s[2:3]
; %bb.111:                              ;   in Loop: Header=BB34_48 Depth=1
	v_or_b32_e32 v3, 0x10000, v2
	v_cmp_eq_u32_sdwa vcc, v2, v13 src0_sel:WORD_0 src1_sel:DWORD
	s_nop 1
	v_cndmask_b32_e32 v3, v3, v2, vcc
; %bb.112:                              ;   in Loop: Header=BB34_48 Depth=1
	s_or_b64 exec, exec, s[2:3]
	v_and_b32_e32 v2, 0xffff0000, v3
	v_mul_f32_e32 v2, v22, v2
	v_min_f32_e32 v2, 0x43e00000, v2
	v_max_f32_e32 v2, 0xc3e00000, v2
	v_and_b32_e32 v6, 0x7fffffff, v2
	v_cmp_gt_u32_e32 vcc, s12, v6
	v_mov_b32_e32 v3, 0x7f
	s_and_saveexec_b64 s[2:3], vcc
	s_cbranch_execz .LBB34_118
; %bb.113:                              ;   in Loop: Header=BB34_48 Depth=1
	v_cmp_lt_u32_e32 vcc, s13, v6
                                        ; implicit-def: $vgpr3
	s_and_saveexec_b64 s[4:5], vcc
	s_xor_b64 s[4:5], exec, s[4:5]
; %bb.114:                              ;   in Loop: Header=BB34_48 Depth=1
	v_bfe_u32 v3, v2, 20, 1
	v_add3_u32 v3, v2, v3, s14
	v_lshrrev_b32_e32 v3, 20, v3
; %bb.115:                              ;   in Loop: Header=BB34_48 Depth=1
	s_andn2_saveexec_b64 s[4:5], s[4:5]
; %bb.116:                              ;   in Loop: Header=BB34_48 Depth=1
	v_add_f32_e64 v3, |v2|, s15
; %bb.117:                              ;   in Loop: Header=BB34_48 Depth=1
	s_or_b64 exec, exec, s[4:5]
.LBB34_118:                             ;   in Loop: Header=BB34_48 Depth=1
	s_or_b64 exec, exec, s[2:3]
	v_lshrrev_b32_e32 v2, 24, v2
	v_and_or_b32 v2, v2, s18, v3
	global_store_byte v[20:21], v2, off offset:4
	v_and_b32_e32 v2, 0xffff0000, v8
	v_mul_f32_e32 v2, v1, v2
	v_and_b32_e32 v3, 0x7f800000, v2
	v_cmp_ne_u32_e32 vcc, s10, v3
                                        ; implicit-def: $vgpr3
	s_and_saveexec_b64 s[2:3], vcc
	s_xor_b64 s[2:3], exec, s[2:3]
; %bb.119:                              ;   in Loop: Header=BB34_48 Depth=1
	v_bfe_u32 v3, v2, 16, 1
	v_add3_u32 v3, v2, v3, s11
                                        ; implicit-def: $vgpr2
; %bb.120:                              ;   in Loop: Header=BB34_48 Depth=1
	s_andn2_saveexec_b64 s[2:3], s[2:3]
; %bb.121:                              ;   in Loop: Header=BB34_48 Depth=1
	v_or_b32_e32 v3, 0x10000, v2
	v_cmp_eq_u32_sdwa vcc, v2, v13 src0_sel:WORD_0 src1_sel:DWORD
	s_nop 1
	v_cndmask_b32_e32 v3, v3, v2, vcc
; %bb.122:                              ;   in Loop: Header=BB34_48 Depth=1
	s_or_b64 exec, exec, s[2:3]
	v_and_b32_e32 v2, 0xffff0000, v3
	v_and_b32_e32 v3, 0xffff0000, v4
	v_mul_f32_e32 v2, v2, v3
	v_and_b32_e32 v3, 0x7f800000, v2
	v_cmp_ne_u32_e32 vcc, s10, v3
                                        ; implicit-def: $vgpr3
	s_and_saveexec_b64 s[2:3], vcc
	s_xor_b64 s[2:3], exec, s[2:3]
; %bb.123:                              ;   in Loop: Header=BB34_48 Depth=1
	v_bfe_u32 v3, v2, 16, 1
	v_add3_u32 v3, v2, v3, s11
                                        ; implicit-def: $vgpr2
; %bb.124:                              ;   in Loop: Header=BB34_48 Depth=1
	s_andn2_saveexec_b64 s[2:3], s[2:3]
; %bb.125:                              ;   in Loop: Header=BB34_48 Depth=1
	v_or_b32_e32 v3, 0x10000, v2
	v_cmp_eq_u32_sdwa vcc, v2, v13 src0_sel:WORD_0 src1_sel:DWORD
	s_nop 1
	v_cndmask_b32_e32 v3, v3, v2, vcc
; %bb.126:                              ;   in Loop: Header=BB34_48 Depth=1
	s_or_b64 exec, exec, s[2:3]
	v_and_b32_e32 v2, 0xffff0000, v3
	v_mul_f32_e32 v2, v22, v2
	v_min_f32_e32 v2, 0x43e00000, v2
	v_max_f32_e32 v2, 0xc3e00000, v2
	v_and_b32_e32 v4, 0x7fffffff, v2
	v_cmp_gt_u32_e32 vcc, s12, v4
	v_mov_b32_e32 v3, 0x7f
	s_and_saveexec_b64 s[2:3], vcc
	s_cbranch_execz .LBB34_132
; %bb.127:                              ;   in Loop: Header=BB34_48 Depth=1
	v_cmp_lt_u32_e32 vcc, s13, v4
                                        ; implicit-def: $vgpr3
	s_and_saveexec_b64 s[4:5], vcc
	s_xor_b64 s[4:5], exec, s[4:5]
; %bb.128:                              ;   in Loop: Header=BB34_48 Depth=1
	v_bfe_u32 v3, v2, 20, 1
	v_add3_u32 v3, v2, v3, s14
	v_lshrrev_b32_e32 v3, 20, v3
; %bb.129:                              ;   in Loop: Header=BB34_48 Depth=1
	s_andn2_saveexec_b64 s[4:5], s[4:5]
; %bb.130:                              ;   in Loop: Header=BB34_48 Depth=1
	v_add_f32_e64 v3, |v2|, s15
; %bb.131:                              ;   in Loop: Header=BB34_48 Depth=1
	s_or_b64 exec, exec, s[4:5]
.LBB34_132:                             ;   in Loop: Header=BB34_48 Depth=1
	s_or_b64 exec, exec, s[2:3]
	v_lshrrev_b32_e32 v2, 24, v2
	v_and_or_b32 v2, v2, s18, v3
	global_store_byte v[20:21], v2, off offset:5
	v_lshlrev_b32_e32 v2, 16, v9
	v_mul_f32_e32 v2, v1, v2
	v_and_b32_e32 v3, 0x7f800000, v2
	v_cmp_ne_u32_e32 vcc, s10, v3
                                        ; implicit-def: $vgpr3
	s_and_saveexec_b64 s[2:3], vcc
	s_xor_b64 s[2:3], exec, s[2:3]
; %bb.133:                              ;   in Loop: Header=BB34_48 Depth=1
	v_bfe_u32 v3, v2, 16, 1
	v_add3_u32 v3, v2, v3, s11
                                        ; implicit-def: $vgpr2
; %bb.134:                              ;   in Loop: Header=BB34_48 Depth=1
	s_andn2_saveexec_b64 s[2:3], s[2:3]
; %bb.135:                              ;   in Loop: Header=BB34_48 Depth=1
	v_or_b32_e32 v3, 0x10000, v2
	v_cmp_eq_u32_sdwa vcc, v2, v13 src0_sel:WORD_0 src1_sel:DWORD
	s_nop 1
	v_cndmask_b32_e32 v3, v3, v2, vcc
; %bb.136:                              ;   in Loop: Header=BB34_48 Depth=1
	s_or_b64 exec, exec, s[2:3]
	v_and_b32_e32 v2, 0xffff0000, v3
	v_lshlrev_b32_e32 v3, 16, v5
	v_mul_f32_e32 v2, v2, v3
	v_and_b32_e32 v3, 0x7f800000, v2
	v_cmp_ne_u32_e32 vcc, s10, v3
                                        ; implicit-def: $vgpr3
	s_and_saveexec_b64 s[2:3], vcc
	s_xor_b64 s[2:3], exec, s[2:3]
; %bb.137:                              ;   in Loop: Header=BB34_48 Depth=1
	v_bfe_u32 v3, v2, 16, 1
	v_add3_u32 v3, v2, v3, s11
                                        ; implicit-def: $vgpr2
; %bb.138:                              ;   in Loop: Header=BB34_48 Depth=1
	s_andn2_saveexec_b64 s[2:3], s[2:3]
; %bb.139:                              ;   in Loop: Header=BB34_48 Depth=1
	v_or_b32_e32 v3, 0x10000, v2
	v_cmp_eq_u32_sdwa vcc, v2, v13 src0_sel:WORD_0 src1_sel:DWORD
	s_nop 1
	v_cndmask_b32_e32 v3, v3, v2, vcc
; %bb.140:                              ;   in Loop: Header=BB34_48 Depth=1
	s_or_b64 exec, exec, s[2:3]
	v_and_b32_e32 v2, 0xffff0000, v3
	v_mul_f32_e32 v2, v22, v2
	v_min_f32_e32 v2, 0x43e00000, v2
	v_max_f32_e32 v2, 0xc3e00000, v2
	v_and_b32_e32 v4, 0x7fffffff, v2
	v_cmp_gt_u32_e32 vcc, s12, v4
	v_mov_b32_e32 v3, 0x7f
	s_and_saveexec_b64 s[2:3], vcc
	s_cbranch_execz .LBB34_146
; %bb.141:                              ;   in Loop: Header=BB34_48 Depth=1
	v_cmp_lt_u32_e32 vcc, s13, v4
                                        ; implicit-def: $vgpr3
	s_and_saveexec_b64 s[4:5], vcc
	s_xor_b64 s[4:5], exec, s[4:5]
; %bb.142:                              ;   in Loop: Header=BB34_48 Depth=1
	v_bfe_u32 v3, v2, 20, 1
	v_add3_u32 v3, v2, v3, s14
	v_lshrrev_b32_e32 v3, 20, v3
; %bb.143:                              ;   in Loop: Header=BB34_48 Depth=1
	s_andn2_saveexec_b64 s[4:5], s[4:5]
; %bb.144:                              ;   in Loop: Header=BB34_48 Depth=1
	v_add_f32_e64 v3, |v2|, s15
; %bb.145:                              ;   in Loop: Header=BB34_48 Depth=1
	s_or_b64 exec, exec, s[4:5]
.LBB34_146:                             ;   in Loop: Header=BB34_48 Depth=1
	s_or_b64 exec, exec, s[2:3]
	v_lshrrev_b32_e32 v2, 24, v2
	v_and_or_b32 v2, v2, s18, v3
	global_store_byte v[20:21], v2, off offset:6
	v_and_b32_e32 v2, 0xffff0000, v9
	v_mul_f32_e32 v2, v1, v2
	v_and_b32_e32 v3, 0x7f800000, v2
	v_cmp_ne_u32_e32 vcc, s10, v3
                                        ; implicit-def: $vgpr3
	s_and_saveexec_b64 s[2:3], vcc
	s_xor_b64 s[2:3], exec, s[2:3]
; %bb.147:                              ;   in Loop: Header=BB34_48 Depth=1
	v_bfe_u32 v3, v2, 16, 1
	v_add3_u32 v3, v2, v3, s11
                                        ; implicit-def: $vgpr2
; %bb.148:                              ;   in Loop: Header=BB34_48 Depth=1
	s_andn2_saveexec_b64 s[2:3], s[2:3]
; %bb.149:                              ;   in Loop: Header=BB34_48 Depth=1
	v_or_b32_e32 v3, 0x10000, v2
	v_cmp_eq_u32_sdwa vcc, v2, v13 src0_sel:WORD_0 src1_sel:DWORD
	s_nop 1
	v_cndmask_b32_e32 v3, v3, v2, vcc
; %bb.150:                              ;   in Loop: Header=BB34_48 Depth=1
	s_or_b64 exec, exec, s[2:3]
	v_and_b32_e32 v2, 0xffff0000, v3
	v_and_b32_e32 v3, 0xffff0000, v5
	v_mul_f32_e32 v2, v2, v3
	v_and_b32_e32 v3, 0x7f800000, v2
	v_cmp_ne_u32_e32 vcc, s10, v3
                                        ; implicit-def: $vgpr3
	s_and_saveexec_b64 s[2:3], vcc
	s_xor_b64 s[2:3], exec, s[2:3]
; %bb.151:                              ;   in Loop: Header=BB34_48 Depth=1
	v_bfe_u32 v3, v2, 16, 1
	v_add3_u32 v3, v2, v3, s11
                                        ; implicit-def: $vgpr2
; %bb.152:                              ;   in Loop: Header=BB34_48 Depth=1
	s_andn2_saveexec_b64 s[2:3], s[2:3]
; %bb.153:                              ;   in Loop: Header=BB34_48 Depth=1
	v_or_b32_e32 v3, 0x10000, v2
	v_cmp_eq_u32_sdwa vcc, v2, v13 src0_sel:WORD_0 src1_sel:DWORD
	s_nop 1
	v_cndmask_b32_e32 v3, v3, v2, vcc
; %bb.154:                              ;   in Loop: Header=BB34_48 Depth=1
	s_or_b64 exec, exec, s[2:3]
	v_and_b32_e32 v2, 0xffff0000, v3
	v_mul_f32_e32 v2, v22, v2
	v_min_f32_e32 v2, 0x43e00000, v2
	v_max_f32_e32 v2, 0xc3e00000, v2
	v_and_b32_e32 v4, 0x7fffffff, v2
	v_cmp_gt_u32_e32 vcc, s12, v4
	v_mov_b32_e32 v3, 0x7f
	s_and_saveexec_b64 s[2:3], vcc
	s_cbranch_execz .LBB34_47
; %bb.155:                              ;   in Loop: Header=BB34_48 Depth=1
	v_cmp_lt_u32_e32 vcc, s13, v4
                                        ; implicit-def: $vgpr3
	s_and_saveexec_b64 s[4:5], vcc
	s_xor_b64 s[4:5], exec, s[4:5]
; %bb.156:                              ;   in Loop: Header=BB34_48 Depth=1
	v_bfe_u32 v3, v2, 20, 1
	v_add3_u32 v3, v2, v3, s14
	v_lshrrev_b32_e32 v3, 20, v3
; %bb.157:                              ;   in Loop: Header=BB34_48 Depth=1
	s_andn2_saveexec_b64 s[4:5], s[4:5]
	s_cbranch_execz .LBB34_46
; %bb.158:                              ;   in Loop: Header=BB34_48 Depth=1
	v_add_f32_e64 v3, |v2|, s15
	s_branch .LBB34_46
.LBB34_159:
	s_endpgm
	.section	.rodata,"a",@progbits
	.p2align	6, 0x0
	.amdhsa_kernel _ZN4vllm42fused_add_rms_norm_static_fp8_quant_kernelIN3c108BFloat16ELi8ENS1_13Float8_e4m3fnEEENSt9enable_ifIXaagtT0_Li0Esr12_typeConvertIT_EE6existsEvE4typeEPT1_PS5_iSA_PKS5_PKffii
		.amdhsa_group_segment_fixed_size 68
		.amdhsa_private_segment_fixed_size 0
		.amdhsa_kernarg_size 320
		.amdhsa_user_sgpr_count 2
		.amdhsa_user_sgpr_dispatch_ptr 0
		.amdhsa_user_sgpr_queue_ptr 0
		.amdhsa_user_sgpr_kernarg_segment_ptr 1
		.amdhsa_user_sgpr_dispatch_id 0
		.amdhsa_user_sgpr_kernarg_preload_length 0
		.amdhsa_user_sgpr_kernarg_preload_offset 0
		.amdhsa_user_sgpr_private_segment_size 0
		.amdhsa_uses_dynamic_stack 0
		.amdhsa_enable_private_segment 0
		.amdhsa_system_sgpr_workgroup_id_x 1
		.amdhsa_system_sgpr_workgroup_id_y 0
		.amdhsa_system_sgpr_workgroup_id_z 0
		.amdhsa_system_sgpr_workgroup_info 0
		.amdhsa_system_vgpr_workitem_id 0
		.amdhsa_next_free_vgpr 24
		.amdhsa_next_free_sgpr 24
		.amdhsa_accum_offset 24
		.amdhsa_reserve_vcc 1
		.amdhsa_float_round_mode_32 0
		.amdhsa_float_round_mode_16_64 0
		.amdhsa_float_denorm_mode_32 3
		.amdhsa_float_denorm_mode_16_64 3
		.amdhsa_dx10_clamp 1
		.amdhsa_ieee_mode 1
		.amdhsa_fp16_overflow 0
		.amdhsa_tg_split 0
		.amdhsa_exception_fp_ieee_invalid_op 0
		.amdhsa_exception_fp_denorm_src 0
		.amdhsa_exception_fp_ieee_div_zero 0
		.amdhsa_exception_fp_ieee_overflow 0
		.amdhsa_exception_fp_ieee_underflow 0
		.amdhsa_exception_fp_ieee_inexact 0
		.amdhsa_exception_int_div_zero 0
	.end_amdhsa_kernel
	.section	.text._ZN4vllm42fused_add_rms_norm_static_fp8_quant_kernelIN3c108BFloat16ELi8ENS1_13Float8_e4m3fnEEENSt9enable_ifIXaagtT0_Li0Esr12_typeConvertIT_EE6existsEvE4typeEPT1_PS5_iSA_PKS5_PKffii,"axG",@progbits,_ZN4vllm42fused_add_rms_norm_static_fp8_quant_kernelIN3c108BFloat16ELi8ENS1_13Float8_e4m3fnEEENSt9enable_ifIXaagtT0_Li0Esr12_typeConvertIT_EE6existsEvE4typeEPT1_PS5_iSA_PKS5_PKffii,comdat
.Lfunc_end34:
	.size	_ZN4vllm42fused_add_rms_norm_static_fp8_quant_kernelIN3c108BFloat16ELi8ENS1_13Float8_e4m3fnEEENSt9enable_ifIXaagtT0_Li0Esr12_typeConvertIT_EE6existsEvE4typeEPT1_PS5_iSA_PKS5_PKffii, .Lfunc_end34-_ZN4vllm42fused_add_rms_norm_static_fp8_quant_kernelIN3c108BFloat16ELi8ENS1_13Float8_e4m3fnEEENSt9enable_ifIXaagtT0_Li0Esr12_typeConvertIT_EE6existsEvE4typeEPT1_PS5_iSA_PKS5_PKffii
                                        ; -- End function
	.section	.AMDGPU.csdata,"",@progbits
; Kernel info:
; codeLenInByte = 4712
; NumSgprs: 30
; NumVgprs: 24
; NumAgprs: 0
; TotalNumVgprs: 24
; ScratchSize: 0
; MemoryBound: 0
; FloatMode: 240
; IeeeMode: 1
; LDSByteSize: 68 bytes/workgroup (compile time only)
; SGPRBlocks: 3
; VGPRBlocks: 2
; NumSGPRsForWavesPerEU: 30
; NumVGPRsForWavesPerEU: 24
; AccumOffset: 24
; Occupancy: 8
; WaveLimiterHint : 0
; COMPUTE_PGM_RSRC2:SCRATCH_EN: 0
; COMPUTE_PGM_RSRC2:USER_SGPR: 2
; COMPUTE_PGM_RSRC2:TRAP_HANDLER: 0
; COMPUTE_PGM_RSRC2:TGID_X_EN: 1
; COMPUTE_PGM_RSRC2:TGID_Y_EN: 0
; COMPUTE_PGM_RSRC2:TGID_Z_EN: 0
; COMPUTE_PGM_RSRC2:TIDIG_COMP_CNT: 0
; COMPUTE_PGM_RSRC3_GFX90A:ACCUM_OFFSET: 5
; COMPUTE_PGM_RSRC3_GFX90A:TG_SPLIT: 0
	.section	.text._ZN4vllm42fused_add_rms_norm_static_fp8_quant_kernelIN3c108BFloat16ELi8ENS1_15Float8_e4m3fnuzEEENSt9enable_ifIXaagtT0_Li0Esr12_typeConvertIT_EE6existsEvE4typeEPT1_PS5_iSA_PKS5_PKffii,"axG",@progbits,_ZN4vllm42fused_add_rms_norm_static_fp8_quant_kernelIN3c108BFloat16ELi8ENS1_15Float8_e4m3fnuzEEENSt9enable_ifIXaagtT0_Li0Esr12_typeConvertIT_EE6existsEvE4typeEPT1_PS5_iSA_PKS5_PKffii,comdat
	.protected	_ZN4vllm42fused_add_rms_norm_static_fp8_quant_kernelIN3c108BFloat16ELi8ENS1_15Float8_e4m3fnuzEEENSt9enable_ifIXaagtT0_Li0Esr12_typeConvertIT_EE6existsEvE4typeEPT1_PS5_iSA_PKS5_PKffii ; -- Begin function _ZN4vllm42fused_add_rms_norm_static_fp8_quant_kernelIN3c108BFloat16ELi8ENS1_15Float8_e4m3fnuzEEENSt9enable_ifIXaagtT0_Li0Esr12_typeConvertIT_EE6existsEvE4typeEPT1_PS5_iSA_PKS5_PKffii
	.globl	_ZN4vllm42fused_add_rms_norm_static_fp8_quant_kernelIN3c108BFloat16ELi8ENS1_15Float8_e4m3fnuzEEENSt9enable_ifIXaagtT0_Li0Esr12_typeConvertIT_EE6existsEvE4typeEPT1_PS5_iSA_PKS5_PKffii
	.p2align	8
	.type	_ZN4vllm42fused_add_rms_norm_static_fp8_quant_kernelIN3c108BFloat16ELi8ENS1_15Float8_e4m3fnuzEEENSt9enable_ifIXaagtT0_Li0Esr12_typeConvertIT_EE6existsEvE4typeEPT1_PS5_iSA_PKS5_PKffii,@function
_ZN4vllm42fused_add_rms_norm_static_fp8_quant_kernelIN3c108BFloat16ELi8ENS1_15Float8_e4m3fnuzEEENSt9enable_ifIXaagtT0_Li0Esr12_typeConvertIT_EE6existsEvE4typeEPT1_PS5_iSA_PKS5_PKffii: ; @_ZN4vllm42fused_add_rms_norm_static_fp8_quant_kernelIN3c108BFloat16ELi8ENS1_15Float8_e4m3fnuzEEENSt9enable_ifIXaagtT0_Li0Esr12_typeConvertIT_EE6existsEvE4typeEPT1_PS5_iSA_PKS5_PKffii
; %bb.0:
	s_load_dword s18, s[0:1], 0x38
	s_load_dwordx2 s[6:7], s[0:1], 0x18
                                        ; implicit-def: $sgpr12
	s_waitcnt lgkmcnt(0)
	s_ashr_i32 s3, s18, 31
	s_lshr_b32 s3, s3, 29
	s_add_i32 s3, s18, s3
	s_ashr_i32 s16, s3, 3
	v_cmp_gt_i32_e64 s[4:5], s16, v0
	v_cmp_le_i32_e32 vcc, s16, v0
                                        ; implicit-def: $sgpr3
	s_and_saveexec_b64 s[8:9], vcc
	s_xor_b64 s[8:9], exec, s[8:9]
	s_cbranch_execz .LBB35_2
; %bb.1:
	s_load_dword s3, s[0:1], 0x4c
	s_mov_b32 s12, 0
	s_waitcnt lgkmcnt(0)
	s_and_b32 s3, s3, 0xffff
.LBB35_2:
	s_or_saveexec_b64 s[8:9], s[8:9]
	s_load_dwordx2 s[10:11], s[0:1], 0x28
	v_mov_b32_e32 v1, s12
	v_mov_b32_e32 v10, s3
	s_mul_i32 s17, s16, s2
	s_xor_b64 exec, exec, s[8:9]
	s_cbranch_execz .LBB35_38
; %bb.3:
	s_load_dword s3, s[0:1], 0x10
	s_load_dword s19, s[0:1], 0x4c
	s_load_dwordx2 s[12:13], s[0:1], 0x8
	s_mov_b64 s[14:15], 0
	v_mov_b32_e32 v10, 0
	s_waitcnt lgkmcnt(0)
	s_ashr_i32 s20, s3, 31
	s_lshr_b32 s20, s20, 29
	s_add_i32 s3, s3, s20
	s_ashr_i32 s20, s3, 3
	s_and_b32 s19, s19, 0xffff
	s_mul_i32 s20, s20, s2
	s_mov_b32 s21, 0x7f800000
	s_movk_i32 s22, 0x7fff
	s_mov_b32 s23, 0x7060302
	v_mov_b32_e32 v1, 0
	v_mov_b32_e32 v11, v0
	s_branch .LBB35_5
.LBB35_4:                               ;   in Loop: Header=BB35_5 Depth=1
	s_or_b64 exec, exec, s[2:3]
	v_and_b32_e32 v17, 0xffff0000, v8
	v_and_b32_e32 v16, 0xffff0000, v13
	;; [unrolled: 1-line block ×4, first 2 shown]
	v_pk_mul_f32 v[16:17], v[16:17], v[16:17]
	v_and_b32_e32 v19, 0xffff0000, v5
	v_and_b32_e32 v18, 0xffff0000, v4
	v_pk_fma_f32 v[2:3], v[2:3], v[2:3], v[16:17]
	v_and_b32_e32 v17, 0xffff0000, v15
	v_and_b32_e32 v16, 0xffff0000, v9
	v_pk_mul_f32 v[18:19], v[18:19], v[18:19]
	v_add_f32_e32 v2, v2, v3
	v_pk_fma_f32 v[16:17], v[16:17], v[16:17], v[18:19]
	v_add_u32_e32 v11, s19, v11
	v_add_f32_e32 v2, v2, v16
	v_add_f32_e32 v2, v2, v17
	v_cmp_le_i32_e32 vcc, s16, v11
	v_add_f32_e32 v1, v1, v2
	v_perm_b32 v5, v5, v15, s23
	v_perm_b32 v4, v4, v9, s23
	;; [unrolled: 1-line block ×4, first 2 shown]
	s_or_b64 s[14:15], vcc, s[14:15]
	global_store_dwordx4 v[6:7], v[2:5], off
	s_andn2_b64 exec, exec, s[14:15]
	s_cbranch_execz .LBB35_37
.LBB35_5:                               ; =>This Inner Loop Header: Depth=1
	v_add_u32_e32 v4, s17, v11
	v_add_u32_e32 v2, s20, v11
	v_ashrrev_i32_e32 v5, 31, v4
	v_ashrrev_i32_e32 v3, 31, v2
	v_lshl_add_u64 v[6:7], v[4:5], 4, s[6:7]
	v_lshl_add_u64 v[8:9], v[2:3], 4, s[12:13]
	global_load_dword v13, v[6:7], off
	global_load_dwordx4 v[2:5], v[8:9], off
	s_waitcnt vmcnt(1)
	v_lshlrev_b32_e32 v8, 16, v13
	s_waitcnt vmcnt(0)
	v_lshlrev_b32_e32 v12, 16, v2
	v_pk_add_f32 v[8:9], v[8:9], v[12:13] op_sel_hi:[0,1]
	v_and_b32_e32 v9, 0x7f800000, v8
	v_cmp_ne_u32_e32 vcc, s21, v9
                                        ; implicit-def: $vgpr12
	s_and_saveexec_b64 s[2:3], vcc
	s_xor_b64 s[2:3], exec, s[2:3]
; %bb.6:                                ;   in Loop: Header=BB35_5 Depth=1
	v_bfe_u32 v9, v8, 16, 1
	v_add3_u32 v12, v8, v9, s22
                                        ; implicit-def: $vgpr8_vgpr9
; %bb.7:                                ;   in Loop: Header=BB35_5 Depth=1
	s_andn2_saveexec_b64 s[2:3], s[2:3]
; %bb.8:                                ;   in Loop: Header=BB35_5 Depth=1
	v_or_b32_e32 v9, 0x10000, v8
	v_cmp_eq_u32_sdwa vcc, v8, v10 src0_sel:WORD_0 src1_sel:DWORD
	s_nop 1
	v_cndmask_b32_e32 v12, v9, v8, vcc
; %bb.9:                                ;   in Loop: Header=BB35_5 Depth=1
	s_or_b64 exec, exec, s[2:3]
	v_and_b32_e32 v8, 0xffff0000, v13
	v_and_b32_e32 v2, 0xffff0000, v2
	v_pk_add_f32 v[8:9], v[8:9], v[2:3] op_sel_hi:[0,1]
	v_and_b32_e32 v2, 0x7f800000, v8
	v_cmp_ne_u32_e32 vcc, s21, v2
                                        ; implicit-def: $vgpr13
	s_and_saveexec_b64 s[2:3], vcc
	s_xor_b64 s[2:3], exec, s[2:3]
; %bb.10:                               ;   in Loop: Header=BB35_5 Depth=1
	v_bfe_u32 v2, v8, 16, 1
	v_add3_u32 v13, v8, v2, s22
                                        ; implicit-def: $vgpr8_vgpr9
; %bb.11:                               ;   in Loop: Header=BB35_5 Depth=1
	s_andn2_saveexec_b64 s[2:3], s[2:3]
; %bb.12:                               ;   in Loop: Header=BB35_5 Depth=1
	v_or_b32_e32 v2, 0x10000, v8
	v_cmp_eq_u32_sdwa vcc, v8, v10 src0_sel:WORD_0 src1_sel:DWORD
	s_nop 1
	v_cndmask_b32_e32 v13, v2, v8, vcc
; %bb.13:                               ;   in Loop: Header=BB35_5 Depth=1
	s_or_b64 exec, exec, s[2:3]
	global_load_dword v2, v[6:7], off offset:4
	v_lshlrev_b32_e32 v14, 16, v3
	s_waitcnt vmcnt(0)
	v_lshlrev_b32_e32 v8, 16, v2
	v_pk_add_f32 v[8:9], v[8:9], v[14:15] op_sel_hi:[0,1]
	v_and_b32_e32 v9, 0x7f800000, v8
	v_cmp_ne_u32_e32 vcc, s21, v9
                                        ; implicit-def: $vgpr14
	s_and_saveexec_b64 s[2:3], vcc
	s_xor_b64 s[2:3], exec, s[2:3]
; %bb.14:                               ;   in Loop: Header=BB35_5 Depth=1
	v_bfe_u32 v9, v8, 16, 1
	v_add3_u32 v14, v8, v9, s22
                                        ; implicit-def: $vgpr8_vgpr9
; %bb.15:                               ;   in Loop: Header=BB35_5 Depth=1
	s_andn2_saveexec_b64 s[2:3], s[2:3]
; %bb.16:                               ;   in Loop: Header=BB35_5 Depth=1
	v_or_b32_e32 v9, 0x10000, v8
	v_cmp_eq_u32_sdwa vcc, v8, v10 src0_sel:WORD_0 src1_sel:DWORD
	s_nop 1
	v_cndmask_b32_e32 v14, v9, v8, vcc
; %bb.17:                               ;   in Loop: Header=BB35_5 Depth=1
	s_or_b64 exec, exec, s[2:3]
	v_and_b32_e32 v2, 0xffff0000, v2
	v_and_b32_e32 v8, 0xffff0000, v3
	v_pk_add_f32 v[2:3], v[2:3], v[8:9] op_sel_hi:[0,1]
	v_and_b32_e32 v3, 0x7f800000, v2
	v_cmp_ne_u32_e32 vcc, s21, v3
                                        ; implicit-def: $vgpr8
	s_and_saveexec_b64 s[2:3], vcc
	s_xor_b64 s[2:3], exec, s[2:3]
; %bb.18:                               ;   in Loop: Header=BB35_5 Depth=1
	v_bfe_u32 v3, v2, 16, 1
	v_add3_u32 v8, v2, v3, s22
                                        ; implicit-def: $vgpr2_vgpr3
; %bb.19:                               ;   in Loop: Header=BB35_5 Depth=1
	s_andn2_saveexec_b64 s[2:3], s[2:3]
; %bb.20:                               ;   in Loop: Header=BB35_5 Depth=1
	v_or_b32_e32 v3, 0x10000, v2
	v_cmp_eq_u32_sdwa vcc, v2, v10 src0_sel:WORD_0 src1_sel:DWORD
	s_nop 1
	v_cndmask_b32_e32 v8, v3, v2, vcc
; %bb.21:                               ;   in Loop: Header=BB35_5 Depth=1
	s_or_b64 exec, exec, s[2:3]
	global_load_dword v15, v[6:7], off offset:8
	v_lshlrev_b32_e32 v16, 16, v4
                                        ; implicit-def: $vgpr9
	s_waitcnt vmcnt(0)
	v_lshlrev_b32_e32 v2, 16, v15
	v_pk_add_f32 v[2:3], v[2:3], v[16:17] op_sel_hi:[0,1]
	v_and_b32_e32 v3, 0x7f800000, v2
	v_cmp_ne_u32_e32 vcc, s21, v3
	s_and_saveexec_b64 s[2:3], vcc
	s_xor_b64 s[2:3], exec, s[2:3]
; %bb.22:                               ;   in Loop: Header=BB35_5 Depth=1
	v_bfe_u32 v3, v2, 16, 1
	v_add3_u32 v9, v2, v3, s22
                                        ; implicit-def: $vgpr2_vgpr3
; %bb.23:                               ;   in Loop: Header=BB35_5 Depth=1
	s_andn2_saveexec_b64 s[2:3], s[2:3]
; %bb.24:                               ;   in Loop: Header=BB35_5 Depth=1
	v_or_b32_e32 v3, 0x10000, v2
	v_cmp_eq_u32_sdwa vcc, v2, v10 src0_sel:WORD_0 src1_sel:DWORD
	s_nop 1
	v_cndmask_b32_e32 v9, v3, v2, vcc
; %bb.25:                               ;   in Loop: Header=BB35_5 Depth=1
	s_or_b64 exec, exec, s[2:3]
	v_and_b32_e32 v2, 0xffff0000, v15
	v_and_b32_e32 v4, 0xffff0000, v4
	v_pk_add_f32 v[2:3], v[2:3], v[4:5] op_sel_hi:[0,1]
	v_and_b32_e32 v3, 0x7f800000, v2
	v_cmp_ne_u32_e32 vcc, s21, v3
                                        ; implicit-def: $vgpr4
	s_and_saveexec_b64 s[2:3], vcc
	s_xor_b64 s[2:3], exec, s[2:3]
; %bb.26:                               ;   in Loop: Header=BB35_5 Depth=1
	v_bfe_u32 v3, v2, 16, 1
	v_add3_u32 v4, v2, v3, s22
                                        ; implicit-def: $vgpr2_vgpr3
; %bb.27:                               ;   in Loop: Header=BB35_5 Depth=1
	s_andn2_saveexec_b64 s[2:3], s[2:3]
; %bb.28:                               ;   in Loop: Header=BB35_5 Depth=1
	v_or_b32_e32 v3, 0x10000, v2
	v_cmp_eq_u32_sdwa vcc, v2, v10 src0_sel:WORD_0 src1_sel:DWORD
	s_nop 1
	v_cndmask_b32_e32 v4, v3, v2, vcc
; %bb.29:                               ;   in Loop: Header=BB35_5 Depth=1
	s_or_b64 exec, exec, s[2:3]
	global_load_dword v16, v[6:7], off offset:12
	v_lshlrev_b32_e32 v18, 16, v5
                                        ; implicit-def: $vgpr15
	s_waitcnt vmcnt(0)
	v_lshlrev_b32_e32 v2, 16, v16
	v_pk_add_f32 v[2:3], v[2:3], v[18:19] op_sel_hi:[0,1]
	v_and_b32_e32 v3, 0x7f800000, v2
	v_cmp_ne_u32_e32 vcc, s21, v3
	s_and_saveexec_b64 s[2:3], vcc
	s_xor_b64 s[2:3], exec, s[2:3]
; %bb.30:                               ;   in Loop: Header=BB35_5 Depth=1
	v_bfe_u32 v3, v2, 16, 1
	v_add3_u32 v15, v2, v3, s22
                                        ; implicit-def: $vgpr2_vgpr3
; %bb.31:                               ;   in Loop: Header=BB35_5 Depth=1
	s_andn2_saveexec_b64 s[2:3], s[2:3]
; %bb.32:                               ;   in Loop: Header=BB35_5 Depth=1
	v_or_b32_e32 v3, 0x10000, v2
	v_cmp_eq_u32_sdwa vcc, v2, v10 src0_sel:WORD_0 src1_sel:DWORD
	s_nop 1
	v_cndmask_b32_e32 v15, v3, v2, vcc
; %bb.33:                               ;   in Loop: Header=BB35_5 Depth=1
	s_or_b64 exec, exec, s[2:3]
	v_and_b32_e32 v2, 0xffff0000, v16
	v_and_b32_e32 v16, 0xffff0000, v5
	v_pk_add_f32 v[2:3], v[2:3], v[16:17] op_sel_hi:[0,1]
	v_and_b32_e32 v3, 0x7f800000, v2
	v_cmp_ne_u32_e32 vcc, s21, v3
                                        ; implicit-def: $vgpr5
	s_and_saveexec_b64 s[2:3], vcc
	s_xor_b64 s[2:3], exec, s[2:3]
; %bb.34:                               ;   in Loop: Header=BB35_5 Depth=1
	v_bfe_u32 v3, v2, 16, 1
	v_add3_u32 v5, v2, v3, s22
                                        ; implicit-def: $vgpr2_vgpr3
; %bb.35:                               ;   in Loop: Header=BB35_5 Depth=1
	s_andn2_saveexec_b64 s[2:3], s[2:3]
	s_cbranch_execz .LBB35_4
; %bb.36:                               ;   in Loop: Header=BB35_5 Depth=1
	v_or_b32_e32 v3, 0x10000, v2
	v_cmp_eq_u32_sdwa vcc, v2, v10 src0_sel:WORD_0 src1_sel:DWORD
	s_nop 1
	v_cndmask_b32_e32 v5, v3, v2, vcc
	s_branch .LBB35_4
.LBB35_37:
	s_or_b64 exec, exec, s[14:15]
	v_mov_b32_e32 v10, s19
.LBB35_38:
	s_or_b64 exec, exec, s[8:9]
	v_mbcnt_lo_u32_b32 v2, -1, 0
	v_mbcnt_hi_u32_b32 v2, -1, v2
	v_and_b32_e32 v3, 63, v2
	v_cmp_ne_u32_e32 vcc, 63, v3
	v_and_b32_e32 v5, 0x3c0, v0
	v_sub_u32_e64 v5, v10, v5 clamp
	v_addc_co_u32_e32 v4, vcc, 0, v2, vcc
	v_lshlrev_b32_e32 v4, 2, v4
	ds_bpermute_b32 v4, v4, v1
	v_add_u32_e32 v6, 1, v2
	v_cmp_lt_u32_e32 vcc, v6, v5
	v_add_u32_e32 v6, 2, v2
	s_load_dwordx2 s[8:9], s[0:1], 0x0
	s_load_dwordx2 s[12:13], s[0:1], 0x20
	s_waitcnt lgkmcnt(0)
	v_add_f32_e32 v4, v1, v4
	v_cndmask_b32_e32 v1, v1, v4, vcc
	v_cmp_gt_u32_e32 vcc, 62, v3
	s_nop 1
	v_cndmask_b32_e64 v4, 0, 1, vcc
	v_lshlrev_b32_e32 v4, 1, v4
	v_add_lshl_u32 v4, v4, v2, 2
	ds_bpermute_b32 v4, v4, v1
	v_cmp_lt_u32_e32 vcc, v6, v5
	v_add_u32_e32 v6, 4, v2
	s_waitcnt lgkmcnt(0)
	v_add_f32_e32 v4, v1, v4
	v_cndmask_b32_e32 v1, v1, v4, vcc
	v_cmp_gt_u32_e32 vcc, 60, v3
	s_nop 1
	v_cndmask_b32_e64 v4, 0, 1, vcc
	v_lshlrev_b32_e32 v4, 2, v4
	v_add_lshl_u32 v4, v4, v2, 2
	ds_bpermute_b32 v4, v4, v1
	v_cmp_lt_u32_e32 vcc, v6, v5
	v_add_u32_e32 v6, 8, v2
	;; [unrolled: 11-line block ×3, first 2 shown]
	s_waitcnt lgkmcnt(0)
	v_add_f32_e32 v4, v1, v4
	v_cndmask_b32_e32 v1, v1, v4, vcc
	v_cmp_gt_u32_e32 vcc, 48, v3
	s_nop 1
	v_cndmask_b32_e64 v4, 0, 1, vcc
	v_lshlrev_b32_e32 v4, 4, v4
	v_add_lshl_u32 v4, v4, v2, 2
	ds_bpermute_b32 v4, v4, v1
	v_cmp_lt_u32_e32 vcc, v6, v5
	s_waitcnt lgkmcnt(0)
	v_add_f32_e32 v4, v1, v4
	v_cndmask_b32_e32 v1, v1, v4, vcc
	v_cmp_gt_u32_e32 vcc, 32, v3
	v_add_u32_e32 v4, 32, v2
	s_nop 0
	v_cndmask_b32_e64 v3, 0, 1, vcc
	v_lshlrev_b32_e32 v3, 5, v3
	v_add_lshl_u32 v3, v3, v2, 2
	ds_bpermute_b32 v3, v3, v1
	v_cmp_lt_u32_e32 vcc, v4, v5
	s_waitcnt lgkmcnt(0)
	v_add_f32_e32 v3, v1, v3
	v_cndmask_b32_e32 v1, v1, v3, vcc
	v_cmp_eq_u32_e32 vcc, 0, v2
	s_and_saveexec_b64 s[2:3], vcc
	s_cbranch_execz .LBB35_40
; %bb.39:
	v_lshrrev_b32_e32 v3, 4, v0
	v_and_b32_e32 v3, 60, v3
	ds_write_b32 v3, v1
.LBB35_40:
	s_or_b64 exec, exec, s[2:3]
	v_cmp_gt_u32_e32 vcc, 16, v0
	s_waitcnt lgkmcnt(0)
	s_barrier
	s_and_saveexec_b64 s[14:15], vcc
	s_cbranch_execz .LBB35_42
; %bb.41:
	v_lshlrev_b32_e32 v1, 2, v2
	ds_read_b32 v1, v1
	v_and_b32_e32 v3, 15, v2
	v_cmp_ne_u32_e32 vcc, 15, v3
	v_add_u32_e32 v5, 63, v10
	v_lshrrev_b32_e32 v5, 6, v5
	v_addc_co_u32_e32 v4, vcc, 0, v2, vcc
	v_lshlrev_b32_e32 v4, 2, v4
	s_waitcnt lgkmcnt(0)
	ds_bpermute_b32 v4, v4, v1
	v_add_u32_e32 v6, 1, v3
	v_cmp_gt_u32_e64 s[2:3], 14, v3
	v_cmp_lt_u32_e32 vcc, v6, v5
	v_add_u32_e32 v7, 2, v3
	v_cndmask_b32_e64 v6, 0, 1, s[2:3]
	s_waitcnt lgkmcnt(0)
	v_add_f32_e32 v4, v1, v4
	v_lshlrev_b32_e32 v6, 1, v6
	v_cndmask_b32_e32 v4, v1, v4, vcc
	v_add_lshl_u32 v6, v6, v2, 2
	ds_bpermute_b32 v6, v6, v4
	v_cmp_lt_u32_e64 s[2:3], v7, v5
	v_add_u32_e32 v7, 4, v3
	s_waitcnt lgkmcnt(0)
	v_add_f32_e32 v6, v4, v6
	v_cndmask_b32_e64 v4, v4, v6, s[2:3]
	v_cmp_gt_u32_e64 s[2:3], 12, v3
	s_nop 1
	v_cndmask_b32_e64 v6, 0, 1, s[2:3]
	v_lshlrev_b32_e32 v6, 2, v6
	v_add_lshl_u32 v6, v6, v2, 2
	ds_bpermute_b32 v6, v6, v4
	v_cmp_lt_u32_e64 s[2:3], v7, v5
	s_waitcnt lgkmcnt(0)
	v_add_f32_e32 v6, v4, v6
	v_cndmask_b32_e64 v4, v4, v6, s[2:3]
	v_cmp_gt_u32_e64 s[2:3], 8, v3
	v_add_u32_e32 v3, 8, v3
	s_nop 0
	v_cndmask_b32_e64 v6, 0, 1, s[2:3]
	v_lshlrev_b32_e32 v6, 3, v6
	v_add_lshl_u32 v2, v6, v2, 2
	ds_bpermute_b32 v2, v2, v4
	v_cmp_lt_u32_e64 s[2:3], v3, v5
	s_waitcnt lgkmcnt(0)
	v_add_f32_e32 v2, v4, v2
	v_cndmask_b32_e64 v2, v4, v2, s[2:3]
	v_cndmask_b32_e32 v1, v1, v2, vcc
.LBB35_42:
	s_or_b64 exec, exec, s[14:15]
	v_cmp_eq_u32_e32 vcc, 0, v0
	s_and_saveexec_b64 s[2:3], vcc
	s_cbranch_execz .LBB35_44
; %bb.43:
	v_cvt_f32_i32_e32 v2, s18
	s_load_dword s14, s[0:1], 0x30
	v_div_scale_f32 v3, s[0:1], v2, v2, v1
	v_rcp_f32_e32 v4, v3
	v_div_scale_f32 v5, vcc, v1, v2, v1
	s_mov_b32 s0, 0x800000
	v_fma_f32 v6, -v3, v4, 1.0
	v_fmac_f32_e32 v4, v6, v4
	v_mul_f32_e32 v6, v5, v4
	v_fma_f32 v7, -v3, v6, v5
	v_fmac_f32_e32 v6, v7, v4
	v_fma_f32 v3, -v3, v6, v5
	v_div_fmas_f32 v3, v3, v4, v6
	v_div_fixup_f32 v1, v3, v2, v1
	s_waitcnt lgkmcnt(0)
	v_add_f32_e32 v1, s14, v1
	v_mul_f32_e32 v2, 0x4b800000, v1
	v_cmp_gt_f32_e32 vcc, s0, v1
	s_nop 1
	v_cndmask_b32_e32 v1, v1, v2, vcc
	v_rsq_f32_e32 v1, v1
	s_nop 0
	v_mul_f32_e32 v2, 0x45800000, v1
	v_cndmask_b32_e32 v1, v1, v2, vcc
	v_mov_b32_e32 v2, 0
	ds_write_b32 v2, v1 offset:64
.LBB35_44:
	s_or_b64 exec, exec, s[2:3]
	s_waitcnt lgkmcnt(0)
	s_barrier
	s_and_saveexec_b64 s[0:1], s[4:5]
	s_cbranch_execz .LBB35_111
; %bb.45:
	s_load_dword s2, s[10:11], 0x0
	v_mov_b32_e32 v13, 0
	ds_read_b32 v1, v13 offset:64
	v_lshlrev_b32_e32 v12, 4, v0
	v_mov_b32_e32 v11, v13
	s_waitcnt lgkmcnt(0)
	v_div_scale_f32 v2, s[0:1], s2, s2, 1.0
	v_rcp_f32_e32 v3, v2
	v_div_scale_f32 v4, vcc, 1.0, s2, 1.0
	v_add_lshl_u32 v14, v0, s17, 3
	v_fma_f32 v5, -v2, v3, 1.0
	v_fmac_f32_e32 v3, v5, v3
	v_mul_f32_e32 v5, v4, v3
	v_fma_f32 v6, -v2, v5, v4
	v_fmac_f32_e32 v5, v6, v3
	v_fma_f32 v2, -v2, v5, v4
	v_div_fmas_f32 v2, v2, v3, v5
	v_div_fixup_f32 v22, v2, s2, 1.0
	v_lshl_add_u64 v[2:3], v[12:13], 0, s[12:13]
	v_lshlrev_b32_e32 v23, 3, v10
	v_lshl_add_u64 v[16:17], v[2:3], 0, 14
	v_lshlrev_b64 v[18:19], 4, v[10:11]
	s_mov_b64 s[0:1], 0
	s_mov_b32 s4, 0x7f800000
	s_movk_i32 s5, 0x7fff
	s_mov_b32 s10, 0x43700000
	v_mov_b32_e32 v11, 0xc3700000
	s_branch .LBB35_47
.LBB35_46:                              ;   in Loop: Header=BB35_47 Depth=1
	s_or_b64 exec, exec, s[2:3]
	v_and_b32_e32 v2, 0xffff0000, v3
	v_mul_f32_e32 v2, v22, v2
	v_min_f32_e32 v2, 0x43600000, v2
	v_max_f32_e32 v2, 0xc3600000, v2
	v_med3_f32 v3, v2, s10, v11
	v_cmp_nlg_f32_e64 vcc, |v2|, s4
	v_add_u32_e32 v0, v0, v10
	v_add_u32_e32 v14, v14, v23
	v_cndmask_b32_e32 v2, v3, v2, vcc
	v_mov_b32_e32 v3, 0
	v_cvt_pk_fp8_f32 v3, v2, v2
	v_cmp_le_i32_e32 vcc, s16, v0
	s_or_b64 s[0:1], vcc, s[0:1]
	v_lshl_add_u64 v[16:17], v[16:17], 0, v[18:19]
	global_store_byte v[20:21], v3, off offset:7
	s_andn2_b64 exec, exec, s[0:1]
	s_cbranch_execz .LBB35_111
.LBB35_47:                              ; =>This Inner Loop Header: Depth=1
	v_add_u32_e32 v2, s17, v0
	v_ashrrev_i32_e32 v3, 31, v2
	v_lshl_add_u64 v[20:21], v[2:3], 4, s[6:7]
	global_load_dwordx4 v[6:9], v[20:21], off
	global_load_dwordx4 v[2:5], v[16:17], off offset:-14
	s_waitcnt vmcnt(1)
	v_lshlrev_b32_e32 v12, 16, v6
	v_mul_f32_e32 v12, v1, v12
	v_and_b32_e32 v15, 0x7f800000, v12
	v_cmp_ne_u32_e32 vcc, s4, v15
                                        ; implicit-def: $vgpr15
	s_and_saveexec_b64 s[2:3], vcc
	s_xor_b64 s[2:3], exec, s[2:3]
; %bb.48:                               ;   in Loop: Header=BB35_47 Depth=1
	v_bfe_u32 v15, v12, 16, 1
	v_add3_u32 v15, v12, v15, s5
                                        ; implicit-def: $vgpr12
; %bb.49:                               ;   in Loop: Header=BB35_47 Depth=1
	s_andn2_saveexec_b64 s[2:3], s[2:3]
; %bb.50:                               ;   in Loop: Header=BB35_47 Depth=1
	v_or_b32_e32 v15, 0x10000, v12
	v_cmp_eq_u32_sdwa vcc, v12, v13 src0_sel:WORD_0 src1_sel:DWORD
	s_nop 1
	v_cndmask_b32_e32 v15, v15, v12, vcc
; %bb.51:                               ;   in Loop: Header=BB35_47 Depth=1
	s_or_b64 exec, exec, s[2:3]
	v_and_b32_e32 v12, 0xffff0000, v15
	s_waitcnt vmcnt(0)
	v_lshlrev_b32_e32 v15, 16, v2
	v_mul_f32_e32 v12, v12, v15
	v_and_b32_e32 v15, 0x7f800000, v12
	v_cmp_ne_u32_e32 vcc, s4, v15
                                        ; implicit-def: $vgpr15
	s_and_saveexec_b64 s[2:3], vcc
	s_xor_b64 s[2:3], exec, s[2:3]
; %bb.52:                               ;   in Loop: Header=BB35_47 Depth=1
	v_bfe_u32 v15, v12, 16, 1
	v_add3_u32 v15, v12, v15, s5
                                        ; implicit-def: $vgpr12
; %bb.53:                               ;   in Loop: Header=BB35_47 Depth=1
	s_andn2_saveexec_b64 s[2:3], s[2:3]
; %bb.54:                               ;   in Loop: Header=BB35_47 Depth=1
	v_or_b32_e32 v15, 0x10000, v12
	v_cmp_eq_u32_sdwa vcc, v12, v13 src0_sel:WORD_0 src1_sel:DWORD
	s_nop 1
	v_cndmask_b32_e32 v15, v15, v12, vcc
; %bb.55:                               ;   in Loop: Header=BB35_47 Depth=1
	s_or_b64 exec, exec, s[2:3]
	v_and_b32_e32 v12, 0xffff0000, v15
	v_mul_f32_e32 v12, v22, v12
	v_min_f32_e32 v12, 0x43600000, v12
	v_max_f32_e32 v12, 0xc3600000, v12
	v_med3_f32 v15, v12, s10, v11
	v_cmp_nlg_f32_e64 vcc, |v12|, s4
	v_mov_b32_e32 v24, 0
	v_and_b32_e32 v6, 0xffff0000, v6
	v_cndmask_b32_e32 v12, v15, v12, vcc
	v_cvt_pk_fp8_f32 v24, v12, v12
	v_mul_f32_e32 v6, v1, v6
	v_ashrrev_i32_e32 v15, 31, v14
	v_and_b32_e32 v12, 0x7f800000, v6
	v_lshl_add_u64 v[20:21], s[8:9], 0, v[14:15]
	v_cmp_ne_u32_e32 vcc, s4, v12
	global_store_byte v[20:21], v24, off
                                        ; implicit-def: $vgpr12
	s_and_saveexec_b64 s[2:3], vcc
	s_xor_b64 s[2:3], exec, s[2:3]
; %bb.56:                               ;   in Loop: Header=BB35_47 Depth=1
	v_bfe_u32 v12, v6, 16, 1
	v_add3_u32 v12, v6, v12, s5
                                        ; implicit-def: $vgpr6
; %bb.57:                               ;   in Loop: Header=BB35_47 Depth=1
	s_andn2_saveexec_b64 s[2:3], s[2:3]
; %bb.58:                               ;   in Loop: Header=BB35_47 Depth=1
	v_or_b32_e32 v12, 0x10000, v6
	v_cmp_eq_u32_sdwa vcc, v6, v13 src0_sel:WORD_0 src1_sel:DWORD
	s_nop 1
	v_cndmask_b32_e32 v12, v12, v6, vcc
; %bb.59:                               ;   in Loop: Header=BB35_47 Depth=1
	s_or_b64 exec, exec, s[2:3]
	v_and_b32_e32 v6, 0xffff0000, v12
	v_and_b32_e32 v2, 0xffff0000, v2
	v_mul_f32_e32 v2, v6, v2
	v_and_b32_e32 v6, 0x7f800000, v2
	v_cmp_ne_u32_e32 vcc, s4, v6
                                        ; implicit-def: $vgpr6
	s_and_saveexec_b64 s[2:3], vcc
	s_xor_b64 s[2:3], exec, s[2:3]
; %bb.60:                               ;   in Loop: Header=BB35_47 Depth=1
	v_bfe_u32 v6, v2, 16, 1
	v_add3_u32 v6, v2, v6, s5
                                        ; implicit-def: $vgpr2
; %bb.61:                               ;   in Loop: Header=BB35_47 Depth=1
	s_andn2_saveexec_b64 s[2:3], s[2:3]
; %bb.62:                               ;   in Loop: Header=BB35_47 Depth=1
	v_or_b32_e32 v6, 0x10000, v2
	v_cmp_eq_u32_sdwa vcc, v2, v13 src0_sel:WORD_0 src1_sel:DWORD
	s_nop 1
	v_cndmask_b32_e32 v6, v6, v2, vcc
; %bb.63:                               ;   in Loop: Header=BB35_47 Depth=1
	s_or_b64 exec, exec, s[2:3]
	v_and_b32_e32 v2, 0xffff0000, v6
	v_mul_f32_e32 v2, v22, v2
	v_min_f32_e32 v2, 0x43600000, v2
	v_max_f32_e32 v2, 0xc3600000, v2
	v_med3_f32 v6, v2, s10, v11
	v_cmp_nlg_f32_e64 vcc, |v2|, s4
	s_nop 1
	v_cndmask_b32_e32 v2, v6, v2, vcc
	v_mov_b32_e32 v6, 0
	v_cvt_pk_fp8_f32 v6, v2, v2
	v_lshlrev_b32_e32 v2, 16, v7
	v_mul_f32_e32 v2, v1, v2
	global_store_byte v[20:21], v6, off offset:1
	v_and_b32_e32 v6, 0x7f800000, v2
	v_cmp_ne_u32_e32 vcc, s4, v6
                                        ; implicit-def: $vgpr6
	s_and_saveexec_b64 s[2:3], vcc
	s_xor_b64 s[2:3], exec, s[2:3]
; %bb.64:                               ;   in Loop: Header=BB35_47 Depth=1
	v_bfe_u32 v6, v2, 16, 1
	v_add3_u32 v6, v2, v6, s5
                                        ; implicit-def: $vgpr2
; %bb.65:                               ;   in Loop: Header=BB35_47 Depth=1
	s_andn2_saveexec_b64 s[2:3], s[2:3]
; %bb.66:                               ;   in Loop: Header=BB35_47 Depth=1
	v_or_b32_e32 v6, 0x10000, v2
	v_cmp_eq_u32_sdwa vcc, v2, v13 src0_sel:WORD_0 src1_sel:DWORD
	s_nop 1
	v_cndmask_b32_e32 v6, v6, v2, vcc
; %bb.67:                               ;   in Loop: Header=BB35_47 Depth=1
	s_or_b64 exec, exec, s[2:3]
	v_and_b32_e32 v2, 0xffff0000, v6
	v_lshlrev_b32_e32 v6, 16, v3
	v_mul_f32_e32 v2, v2, v6
	v_and_b32_e32 v6, 0x7f800000, v2
	v_cmp_ne_u32_e32 vcc, s4, v6
                                        ; implicit-def: $vgpr6
	s_and_saveexec_b64 s[2:3], vcc
	s_xor_b64 s[2:3], exec, s[2:3]
; %bb.68:                               ;   in Loop: Header=BB35_47 Depth=1
	v_bfe_u32 v6, v2, 16, 1
	v_add3_u32 v6, v2, v6, s5
                                        ; implicit-def: $vgpr2
; %bb.69:                               ;   in Loop: Header=BB35_47 Depth=1
	s_andn2_saveexec_b64 s[2:3], s[2:3]
; %bb.70:                               ;   in Loop: Header=BB35_47 Depth=1
	v_or_b32_e32 v6, 0x10000, v2
	v_cmp_eq_u32_sdwa vcc, v2, v13 src0_sel:WORD_0 src1_sel:DWORD
	s_nop 1
	v_cndmask_b32_e32 v6, v6, v2, vcc
; %bb.71:                               ;   in Loop: Header=BB35_47 Depth=1
	s_or_b64 exec, exec, s[2:3]
	v_and_b32_e32 v2, 0xffff0000, v6
	v_mul_f32_e32 v2, v22, v2
	v_min_f32_e32 v2, 0x43600000, v2
	v_max_f32_e32 v2, 0xc3600000, v2
	v_med3_f32 v6, v2, s10, v11
	v_cmp_nlg_f32_e64 vcc, |v2|, s4
	s_nop 1
	v_cndmask_b32_e32 v2, v6, v2, vcc
	v_mov_b32_e32 v6, 0
	v_cvt_pk_fp8_f32 v6, v2, v2
	v_and_b32_e32 v2, 0xffff0000, v7
	v_mul_f32_e32 v2, v1, v2
	global_store_byte v[20:21], v6, off offset:2
	v_and_b32_e32 v6, 0x7f800000, v2
	v_cmp_ne_u32_e32 vcc, s4, v6
                                        ; implicit-def: $vgpr6
	s_and_saveexec_b64 s[2:3], vcc
	s_xor_b64 s[2:3], exec, s[2:3]
; %bb.72:                               ;   in Loop: Header=BB35_47 Depth=1
	v_bfe_u32 v6, v2, 16, 1
	v_add3_u32 v6, v2, v6, s5
                                        ; implicit-def: $vgpr2
; %bb.73:                               ;   in Loop: Header=BB35_47 Depth=1
	s_andn2_saveexec_b64 s[2:3], s[2:3]
; %bb.74:                               ;   in Loop: Header=BB35_47 Depth=1
	v_or_b32_e32 v6, 0x10000, v2
	v_cmp_eq_u32_sdwa vcc, v2, v13 src0_sel:WORD_0 src1_sel:DWORD
	s_nop 1
	v_cndmask_b32_e32 v6, v6, v2, vcc
; %bb.75:                               ;   in Loop: Header=BB35_47 Depth=1
	s_or_b64 exec, exec, s[2:3]
	v_and_b32_e32 v2, 0xffff0000, v6
	v_and_b32_e32 v3, 0xffff0000, v3
	v_mul_f32_e32 v2, v2, v3
	v_and_b32_e32 v3, 0x7f800000, v2
	v_cmp_ne_u32_e32 vcc, s4, v3
                                        ; implicit-def: $vgpr3
	s_and_saveexec_b64 s[2:3], vcc
	s_xor_b64 s[2:3], exec, s[2:3]
; %bb.76:                               ;   in Loop: Header=BB35_47 Depth=1
	v_bfe_u32 v3, v2, 16, 1
	v_add3_u32 v3, v2, v3, s5
                                        ; implicit-def: $vgpr2
; %bb.77:                               ;   in Loop: Header=BB35_47 Depth=1
	s_andn2_saveexec_b64 s[2:3], s[2:3]
; %bb.78:                               ;   in Loop: Header=BB35_47 Depth=1
	v_or_b32_e32 v3, 0x10000, v2
	v_cmp_eq_u32_sdwa vcc, v2, v13 src0_sel:WORD_0 src1_sel:DWORD
	s_nop 1
	v_cndmask_b32_e32 v3, v3, v2, vcc
; %bb.79:                               ;   in Loop: Header=BB35_47 Depth=1
	s_or_b64 exec, exec, s[2:3]
	v_and_b32_e32 v2, 0xffff0000, v3
	v_mul_f32_e32 v2, v22, v2
	v_min_f32_e32 v2, 0x43600000, v2
	v_max_f32_e32 v2, 0xc3600000, v2
	v_med3_f32 v3, v2, s10, v11
	v_cmp_nlg_f32_e64 vcc, |v2|, s4
	s_nop 1
	v_cndmask_b32_e32 v2, v3, v2, vcc
	v_mov_b32_e32 v3, 0
	v_cvt_pk_fp8_f32 v3, v2, v2
	v_lshlrev_b32_e32 v2, 16, v8
	v_mul_f32_e32 v2, v1, v2
	global_store_byte v[20:21], v3, off offset:3
	v_and_b32_e32 v3, 0x7f800000, v2
	v_cmp_ne_u32_e32 vcc, s4, v3
                                        ; implicit-def: $vgpr3
	s_and_saveexec_b64 s[2:3], vcc
	s_xor_b64 s[2:3], exec, s[2:3]
; %bb.80:                               ;   in Loop: Header=BB35_47 Depth=1
	v_bfe_u32 v3, v2, 16, 1
	v_add3_u32 v3, v2, v3, s5
                                        ; implicit-def: $vgpr2
; %bb.81:                               ;   in Loop: Header=BB35_47 Depth=1
	s_andn2_saveexec_b64 s[2:3], s[2:3]
; %bb.82:                               ;   in Loop: Header=BB35_47 Depth=1
	v_or_b32_e32 v3, 0x10000, v2
	v_cmp_eq_u32_sdwa vcc, v2, v13 src0_sel:WORD_0 src1_sel:DWORD
	s_nop 1
	v_cndmask_b32_e32 v3, v3, v2, vcc
; %bb.83:                               ;   in Loop: Header=BB35_47 Depth=1
	s_or_b64 exec, exec, s[2:3]
	v_and_b32_e32 v2, 0xffff0000, v3
	v_lshlrev_b32_e32 v3, 16, v4
	v_mul_f32_e32 v2, v2, v3
	v_and_b32_e32 v3, 0x7f800000, v2
	v_cmp_ne_u32_e32 vcc, s4, v3
                                        ; implicit-def: $vgpr3
	s_and_saveexec_b64 s[2:3], vcc
	s_xor_b64 s[2:3], exec, s[2:3]
; %bb.84:                               ;   in Loop: Header=BB35_47 Depth=1
	v_bfe_u32 v3, v2, 16, 1
	v_add3_u32 v3, v2, v3, s5
                                        ; implicit-def: $vgpr2
; %bb.85:                               ;   in Loop: Header=BB35_47 Depth=1
	s_andn2_saveexec_b64 s[2:3], s[2:3]
; %bb.86:                               ;   in Loop: Header=BB35_47 Depth=1
	v_or_b32_e32 v3, 0x10000, v2
	v_cmp_eq_u32_sdwa vcc, v2, v13 src0_sel:WORD_0 src1_sel:DWORD
	s_nop 1
	v_cndmask_b32_e32 v3, v3, v2, vcc
; %bb.87:                               ;   in Loop: Header=BB35_47 Depth=1
	s_or_b64 exec, exec, s[2:3]
	v_and_b32_e32 v2, 0xffff0000, v3
	v_mul_f32_e32 v2, v22, v2
	v_min_f32_e32 v2, 0x43600000, v2
	v_max_f32_e32 v2, 0xc3600000, v2
	v_med3_f32 v3, v2, s10, v11
	v_cmp_nlg_f32_e64 vcc, |v2|, s4
	s_nop 1
	v_cndmask_b32_e32 v2, v3, v2, vcc
	v_mov_b32_e32 v3, 0
	v_cvt_pk_fp8_f32 v3, v2, v2
	v_and_b32_e32 v2, 0xffff0000, v8
	v_mul_f32_e32 v2, v1, v2
	global_store_byte v[20:21], v3, off offset:4
	v_and_b32_e32 v3, 0x7f800000, v2
	v_cmp_ne_u32_e32 vcc, s4, v3
                                        ; implicit-def: $vgpr3
	s_and_saveexec_b64 s[2:3], vcc
	s_xor_b64 s[2:3], exec, s[2:3]
; %bb.88:                               ;   in Loop: Header=BB35_47 Depth=1
	v_bfe_u32 v3, v2, 16, 1
	v_add3_u32 v3, v2, v3, s5
                                        ; implicit-def: $vgpr2
; %bb.89:                               ;   in Loop: Header=BB35_47 Depth=1
	s_andn2_saveexec_b64 s[2:3], s[2:3]
; %bb.90:                               ;   in Loop: Header=BB35_47 Depth=1
	v_or_b32_e32 v3, 0x10000, v2
	v_cmp_eq_u32_sdwa vcc, v2, v13 src0_sel:WORD_0 src1_sel:DWORD
	s_nop 1
	v_cndmask_b32_e32 v3, v3, v2, vcc
; %bb.91:                               ;   in Loop: Header=BB35_47 Depth=1
	s_or_b64 exec, exec, s[2:3]
	v_and_b32_e32 v2, 0xffff0000, v3
	v_and_b32_e32 v3, 0xffff0000, v4
	v_mul_f32_e32 v2, v2, v3
	v_and_b32_e32 v3, 0x7f800000, v2
	v_cmp_ne_u32_e32 vcc, s4, v3
                                        ; implicit-def: $vgpr3
	s_and_saveexec_b64 s[2:3], vcc
	s_xor_b64 s[2:3], exec, s[2:3]
; %bb.92:                               ;   in Loop: Header=BB35_47 Depth=1
	v_bfe_u32 v3, v2, 16, 1
	v_add3_u32 v3, v2, v3, s5
                                        ; implicit-def: $vgpr2
; %bb.93:                               ;   in Loop: Header=BB35_47 Depth=1
	s_andn2_saveexec_b64 s[2:3], s[2:3]
; %bb.94:                               ;   in Loop: Header=BB35_47 Depth=1
	v_or_b32_e32 v3, 0x10000, v2
	v_cmp_eq_u32_sdwa vcc, v2, v13 src0_sel:WORD_0 src1_sel:DWORD
	s_nop 1
	v_cndmask_b32_e32 v3, v3, v2, vcc
; %bb.95:                               ;   in Loop: Header=BB35_47 Depth=1
	s_or_b64 exec, exec, s[2:3]
	v_and_b32_e32 v2, 0xffff0000, v3
	v_mul_f32_e32 v2, v22, v2
	v_min_f32_e32 v2, 0x43600000, v2
	v_max_f32_e32 v2, 0xc3600000, v2
	v_med3_f32 v3, v2, s10, v11
	v_cmp_nlg_f32_e64 vcc, |v2|, s4
	s_nop 1
	v_cndmask_b32_e32 v2, v3, v2, vcc
	v_mov_b32_e32 v3, 0
	v_cvt_pk_fp8_f32 v3, v2, v2
	v_lshlrev_b32_e32 v2, 16, v9
	v_mul_f32_e32 v2, v1, v2
	global_store_byte v[20:21], v3, off offset:5
	v_and_b32_e32 v3, 0x7f800000, v2
	v_cmp_ne_u32_e32 vcc, s4, v3
                                        ; implicit-def: $vgpr3
	s_and_saveexec_b64 s[2:3], vcc
	s_xor_b64 s[2:3], exec, s[2:3]
; %bb.96:                               ;   in Loop: Header=BB35_47 Depth=1
	v_bfe_u32 v3, v2, 16, 1
	v_add3_u32 v3, v2, v3, s5
                                        ; implicit-def: $vgpr2
; %bb.97:                               ;   in Loop: Header=BB35_47 Depth=1
	s_andn2_saveexec_b64 s[2:3], s[2:3]
; %bb.98:                               ;   in Loop: Header=BB35_47 Depth=1
	v_or_b32_e32 v3, 0x10000, v2
	v_cmp_eq_u32_sdwa vcc, v2, v13 src0_sel:WORD_0 src1_sel:DWORD
	s_nop 1
	v_cndmask_b32_e32 v3, v3, v2, vcc
; %bb.99:                               ;   in Loop: Header=BB35_47 Depth=1
	s_or_b64 exec, exec, s[2:3]
	v_and_b32_e32 v2, 0xffff0000, v3
	v_lshlrev_b32_e32 v3, 16, v5
	v_mul_f32_e32 v2, v2, v3
	v_and_b32_e32 v3, 0x7f800000, v2
	v_cmp_ne_u32_e32 vcc, s4, v3
                                        ; implicit-def: $vgpr3
	s_and_saveexec_b64 s[2:3], vcc
	s_xor_b64 s[2:3], exec, s[2:3]
; %bb.100:                              ;   in Loop: Header=BB35_47 Depth=1
	v_bfe_u32 v3, v2, 16, 1
	v_add3_u32 v3, v2, v3, s5
                                        ; implicit-def: $vgpr2
; %bb.101:                              ;   in Loop: Header=BB35_47 Depth=1
	s_andn2_saveexec_b64 s[2:3], s[2:3]
; %bb.102:                              ;   in Loop: Header=BB35_47 Depth=1
	v_or_b32_e32 v3, 0x10000, v2
	v_cmp_eq_u32_sdwa vcc, v2, v13 src0_sel:WORD_0 src1_sel:DWORD
	s_nop 1
	v_cndmask_b32_e32 v3, v3, v2, vcc
; %bb.103:                              ;   in Loop: Header=BB35_47 Depth=1
	s_or_b64 exec, exec, s[2:3]
	v_and_b32_e32 v2, 0xffff0000, v3
	v_mul_f32_e32 v2, v22, v2
	v_min_f32_e32 v2, 0x43600000, v2
	v_max_f32_e32 v2, 0xc3600000, v2
	v_med3_f32 v3, v2, s10, v11
	v_cmp_nlg_f32_e64 vcc, |v2|, s4
	s_nop 1
	v_cndmask_b32_e32 v2, v3, v2, vcc
	v_mov_b32_e32 v3, 0
	v_cvt_pk_fp8_f32 v3, v2, v2
	v_and_b32_e32 v2, 0xffff0000, v9
	v_mul_f32_e32 v2, v1, v2
	global_store_byte v[20:21], v3, off offset:6
	v_and_b32_e32 v3, 0x7f800000, v2
	v_cmp_ne_u32_e32 vcc, s4, v3
                                        ; implicit-def: $vgpr3
	s_and_saveexec_b64 s[2:3], vcc
	s_xor_b64 s[2:3], exec, s[2:3]
; %bb.104:                              ;   in Loop: Header=BB35_47 Depth=1
	v_bfe_u32 v3, v2, 16, 1
	v_add3_u32 v3, v2, v3, s5
                                        ; implicit-def: $vgpr2
; %bb.105:                              ;   in Loop: Header=BB35_47 Depth=1
	s_andn2_saveexec_b64 s[2:3], s[2:3]
; %bb.106:                              ;   in Loop: Header=BB35_47 Depth=1
	v_or_b32_e32 v3, 0x10000, v2
	v_cmp_eq_u32_sdwa vcc, v2, v13 src0_sel:WORD_0 src1_sel:DWORD
	s_nop 1
	v_cndmask_b32_e32 v3, v3, v2, vcc
; %bb.107:                              ;   in Loop: Header=BB35_47 Depth=1
	s_or_b64 exec, exec, s[2:3]
	v_and_b32_e32 v2, 0xffff0000, v3
	v_and_b32_e32 v3, 0xffff0000, v5
	v_mul_f32_e32 v2, v2, v3
	v_and_b32_e32 v3, 0x7f800000, v2
	v_cmp_ne_u32_e32 vcc, s4, v3
                                        ; implicit-def: $vgpr3
	s_and_saveexec_b64 s[2:3], vcc
	s_xor_b64 s[2:3], exec, s[2:3]
; %bb.108:                              ;   in Loop: Header=BB35_47 Depth=1
	v_bfe_u32 v3, v2, 16, 1
	v_add3_u32 v3, v2, v3, s5
                                        ; implicit-def: $vgpr2
; %bb.109:                              ;   in Loop: Header=BB35_47 Depth=1
	s_andn2_saveexec_b64 s[2:3], s[2:3]
	s_cbranch_execz .LBB35_46
; %bb.110:                              ;   in Loop: Header=BB35_47 Depth=1
	v_or_b32_e32 v3, 0x10000, v2
	v_cmp_eq_u32_sdwa vcc, v2, v13 src0_sel:WORD_0 src1_sel:DWORD
	s_nop 1
	v_cndmask_b32_e32 v3, v3, v2, vcc
	s_branch .LBB35_46
.LBB35_111:
	s_endpgm
	.section	.rodata,"a",@progbits
	.p2align	6, 0x0
	.amdhsa_kernel _ZN4vllm42fused_add_rms_norm_static_fp8_quant_kernelIN3c108BFloat16ELi8ENS1_15Float8_e4m3fnuzEEENSt9enable_ifIXaagtT0_Li0Esr12_typeConvertIT_EE6existsEvE4typeEPT1_PS5_iSA_PKS5_PKffii
		.amdhsa_group_segment_fixed_size 68
		.amdhsa_private_segment_fixed_size 0
		.amdhsa_kernarg_size 320
		.amdhsa_user_sgpr_count 2
		.amdhsa_user_sgpr_dispatch_ptr 0
		.amdhsa_user_sgpr_queue_ptr 0
		.amdhsa_user_sgpr_kernarg_segment_ptr 1
		.amdhsa_user_sgpr_dispatch_id 0
		.amdhsa_user_sgpr_kernarg_preload_length 0
		.amdhsa_user_sgpr_kernarg_preload_offset 0
		.amdhsa_user_sgpr_private_segment_size 0
		.amdhsa_uses_dynamic_stack 0
		.amdhsa_enable_private_segment 0
		.amdhsa_system_sgpr_workgroup_id_x 1
		.amdhsa_system_sgpr_workgroup_id_y 0
		.amdhsa_system_sgpr_workgroup_id_z 0
		.amdhsa_system_sgpr_workgroup_info 0
		.amdhsa_system_vgpr_workitem_id 0
		.amdhsa_next_free_vgpr 25
		.amdhsa_next_free_sgpr 24
		.amdhsa_accum_offset 28
		.amdhsa_reserve_vcc 1
		.amdhsa_float_round_mode_32 0
		.amdhsa_float_round_mode_16_64 0
		.amdhsa_float_denorm_mode_32 3
		.amdhsa_float_denorm_mode_16_64 3
		.amdhsa_dx10_clamp 1
		.amdhsa_ieee_mode 1
		.amdhsa_fp16_overflow 0
		.amdhsa_tg_split 0
		.amdhsa_exception_fp_ieee_invalid_op 0
		.amdhsa_exception_fp_denorm_src 0
		.amdhsa_exception_fp_ieee_div_zero 0
		.amdhsa_exception_fp_ieee_overflow 0
		.amdhsa_exception_fp_ieee_underflow 0
		.amdhsa_exception_fp_ieee_inexact 0
		.amdhsa_exception_int_div_zero 0
	.end_amdhsa_kernel
	.section	.text._ZN4vllm42fused_add_rms_norm_static_fp8_quant_kernelIN3c108BFloat16ELi8ENS1_15Float8_e4m3fnuzEEENSt9enable_ifIXaagtT0_Li0Esr12_typeConvertIT_EE6existsEvE4typeEPT1_PS5_iSA_PKS5_PKffii,"axG",@progbits,_ZN4vllm42fused_add_rms_norm_static_fp8_quant_kernelIN3c108BFloat16ELi8ENS1_15Float8_e4m3fnuzEEENSt9enable_ifIXaagtT0_Li0Esr12_typeConvertIT_EE6existsEvE4typeEPT1_PS5_iSA_PKS5_PKffii,comdat
.Lfunc_end35:
	.size	_ZN4vllm42fused_add_rms_norm_static_fp8_quant_kernelIN3c108BFloat16ELi8ENS1_15Float8_e4m3fnuzEEENSt9enable_ifIXaagtT0_Li0Esr12_typeConvertIT_EE6existsEvE4typeEPT1_PS5_iSA_PKS5_PKffii, .Lfunc_end35-_ZN4vllm42fused_add_rms_norm_static_fp8_quant_kernelIN3c108BFloat16ELi8ENS1_15Float8_e4m3fnuzEEENSt9enable_ifIXaagtT0_Li0Esr12_typeConvertIT_EE6existsEvE4typeEPT1_PS5_iSA_PKS5_PKffii
                                        ; -- End function
	.section	.AMDGPU.csdata,"",@progbits
; Kernel info:
; codeLenInByte = 4236
; NumSgprs: 30
; NumVgprs: 25
; NumAgprs: 0
; TotalNumVgprs: 25
; ScratchSize: 0
; MemoryBound: 0
; FloatMode: 240
; IeeeMode: 1
; LDSByteSize: 68 bytes/workgroup (compile time only)
; SGPRBlocks: 3
; VGPRBlocks: 3
; NumSGPRsForWavesPerEU: 30
; NumVGPRsForWavesPerEU: 25
; AccumOffset: 28
; Occupancy: 8
; WaveLimiterHint : 0
; COMPUTE_PGM_RSRC2:SCRATCH_EN: 0
; COMPUTE_PGM_RSRC2:USER_SGPR: 2
; COMPUTE_PGM_RSRC2:TRAP_HANDLER: 0
; COMPUTE_PGM_RSRC2:TGID_X_EN: 1
; COMPUTE_PGM_RSRC2:TGID_Y_EN: 0
; COMPUTE_PGM_RSRC2:TGID_Z_EN: 0
; COMPUTE_PGM_RSRC2:TIDIG_COMP_CNT: 0
; COMPUTE_PGM_RSRC3_GFX90A:ACCUM_OFFSET: 6
; COMPUTE_PGM_RSRC3_GFX90A:TG_SPLIT: 0
	.section	.text._ZN4vllm42fused_add_rms_norm_static_fp8_quant_kernelIfLi0EN3c1013Float8_e4m3fnEEENSt9enable_ifIXooeqT0_Li0Entsr12_typeConvertIT_EE6existsEvE4typeEPT1_PS4_iS9_PKS4_PKffii,"axG",@progbits,_ZN4vllm42fused_add_rms_norm_static_fp8_quant_kernelIfLi0EN3c1013Float8_e4m3fnEEENSt9enable_ifIXooeqT0_Li0Entsr12_typeConvertIT_EE6existsEvE4typeEPT1_PS4_iS9_PKS4_PKffii,comdat
	.protected	_ZN4vllm42fused_add_rms_norm_static_fp8_quant_kernelIfLi0EN3c1013Float8_e4m3fnEEENSt9enable_ifIXooeqT0_Li0Entsr12_typeConvertIT_EE6existsEvE4typeEPT1_PS4_iS9_PKS4_PKffii ; -- Begin function _ZN4vllm42fused_add_rms_norm_static_fp8_quant_kernelIfLi0EN3c1013Float8_e4m3fnEEENSt9enable_ifIXooeqT0_Li0Entsr12_typeConvertIT_EE6existsEvE4typeEPT1_PS4_iS9_PKS4_PKffii
	.globl	_ZN4vllm42fused_add_rms_norm_static_fp8_quant_kernelIfLi0EN3c1013Float8_e4m3fnEEENSt9enable_ifIXooeqT0_Li0Entsr12_typeConvertIT_EE6existsEvE4typeEPT1_PS4_iS9_PKS4_PKffii
	.p2align	8
	.type	_ZN4vllm42fused_add_rms_norm_static_fp8_quant_kernelIfLi0EN3c1013Float8_e4m3fnEEENSt9enable_ifIXooeqT0_Li0Entsr12_typeConvertIT_EE6existsEvE4typeEPT1_PS4_iS9_PKS4_PKffii,@function
_ZN4vllm42fused_add_rms_norm_static_fp8_quant_kernelIfLi0EN3c1013Float8_e4m3fnEEENSt9enable_ifIXooeqT0_Li0Entsr12_typeConvertIT_EE6existsEvE4typeEPT1_PS4_iS9_PKS4_PKffii: ; @_ZN4vllm42fused_add_rms_norm_static_fp8_quant_kernelIfLi0EN3c1013Float8_e4m3fnEEENSt9enable_ifIXooeqT0_Li0Entsr12_typeConvertIT_EE6existsEvE4typeEPT1_PS4_iS9_PKS4_PKffii
; %bb.0:
	s_load_dword s18, s[0:1], 0x38
	s_load_dwordx2 s[6:7], s[0:1], 0x18
                                        ; implicit-def: $sgpr14
                                        ; implicit-def: $sgpr3
	s_waitcnt lgkmcnt(0)
	v_cmp_gt_i32_e64 s[4:5], s18, v0
	v_cmp_le_i32_e32 vcc, s18, v0
	s_and_saveexec_b64 s[8:9], vcc
	s_xor_b64 s[8:9], exec, s[8:9]
	s_cbranch_execz .LBB36_2
; %bb.1:
	s_load_dword s3, s[0:1], 0x4c
	s_mov_b32 s14, 0
	s_waitcnt lgkmcnt(0)
	s_and_b32 s3, s3, 0xffff
.LBB36_2:
	s_or_saveexec_b64 s[12:13], s[8:9]
	s_load_dwordx4 s[8:11], s[0:1], 0x20
	v_mov_b32_e32 v5, s14
	v_mov_b32_e32 v4, s3
	s_mul_i32 s19, s2, s18
	s_xor_b64 exec, exec, s[12:13]
	s_cbranch_execz .LBB36_6
; %bb.3:
	s_load_dword s3, s[0:1], 0x10
	s_load_dword s20, s[0:1], 0x4c
	s_load_dwordx2 s[14:15], s[0:1], 0x8
	s_mov_b64 s[16:17], 0
	v_mov_b32_e32 v3, 0
	s_waitcnt lgkmcnt(0)
	s_mul_i32 s3, s2, s3
	s_and_b32 s2, s20, 0xffff
	v_mov_b32_e32 v5, 0
	v_mov_b32_e32 v1, v0
.LBB36_4:                               ; =>This Inner Loop Header: Depth=1
	v_add_u32_e32 v2, s3, v1
	v_lshl_add_u64 v[6:7], v[2:3], 2, s[14:15]
	v_add_u32_e32 v2, s19, v1
	global_load_dword v4, v[6:7], off
	v_lshl_add_u64 v[6:7], v[2:3], 2, s[6:7]
	global_load_dword v2, v[6:7], off
	v_add_u32_e32 v1, s2, v1
	v_cmp_le_i32_e32 vcc, s18, v1
	s_or_b64 s[16:17], vcc, s[16:17]
	s_waitcnt vmcnt(0)
	v_add_f32_e32 v2, v4, v2
	v_fmac_f32_e32 v5, v2, v2
	global_store_dword v[6:7], v2, off
	s_andn2_b64 exec, exec, s[16:17]
	s_cbranch_execnz .LBB36_4
; %bb.5:
	s_or_b64 exec, exec, s[16:17]
	v_mov_b32_e32 v4, s2
.LBB36_6:
	s_or_b64 exec, exec, s[12:13]
	v_mbcnt_lo_u32_b32 v1, -1, 0
	v_mbcnt_hi_u32_b32 v1, -1, v1
	v_and_b32_e32 v2, 63, v1
	v_cmp_ne_u32_e32 vcc, 63, v2
	v_and_b32_e32 v6, 0x3c0, v0
	v_sub_u32_e64 v6, v4, v6 clamp
	v_addc_co_u32_e32 v3, vcc, 0, v1, vcc
	v_lshlrev_b32_e32 v3, 2, v3
	ds_bpermute_b32 v3, v3, v5
	v_add_u32_e32 v7, 1, v1
	v_cmp_lt_u32_e32 vcc, v7, v6
	v_add_u32_e32 v7, 2, v1
	s_load_dwordx2 s[12:13], s[0:1], 0x0
	s_waitcnt lgkmcnt(0)
	v_add_f32_e32 v3, v5, v3
	v_cndmask_b32_e32 v3, v5, v3, vcc
	v_cmp_gt_u32_e32 vcc, 62, v2
	s_nop 1
	v_cndmask_b32_e64 v5, 0, 1, vcc
	v_lshlrev_b32_e32 v5, 1, v5
	v_add_lshl_u32 v5, v5, v1, 2
	ds_bpermute_b32 v5, v5, v3
	v_cmp_lt_u32_e32 vcc, v7, v6
	v_add_u32_e32 v7, 4, v1
	s_waitcnt lgkmcnt(0)
	v_add_f32_e32 v5, v3, v5
	v_cndmask_b32_e32 v3, v3, v5, vcc
	v_cmp_gt_u32_e32 vcc, 60, v2
	s_nop 1
	v_cndmask_b32_e64 v5, 0, 1, vcc
	v_lshlrev_b32_e32 v5, 2, v5
	v_add_lshl_u32 v5, v5, v1, 2
	ds_bpermute_b32 v5, v5, v3
	v_cmp_lt_u32_e32 vcc, v7, v6
	v_add_u32_e32 v7, 8, v1
	;; [unrolled: 11-line block ×3, first 2 shown]
	s_waitcnt lgkmcnt(0)
	v_add_f32_e32 v5, v3, v5
	v_cndmask_b32_e32 v3, v3, v5, vcc
	v_cmp_gt_u32_e32 vcc, 48, v2
	s_nop 1
	v_cndmask_b32_e64 v5, 0, 1, vcc
	v_lshlrev_b32_e32 v5, 4, v5
	v_add_lshl_u32 v5, v5, v1, 2
	ds_bpermute_b32 v5, v5, v3
	v_cmp_lt_u32_e32 vcc, v7, v6
	s_waitcnt lgkmcnt(0)
	v_add_f32_e32 v5, v3, v5
	v_cndmask_b32_e32 v3, v3, v5, vcc
	v_cmp_gt_u32_e32 vcc, 32, v2
	v_add_u32_e32 v5, 32, v1
	s_nop 0
	v_cndmask_b32_e64 v2, 0, 1, vcc
	v_lshlrev_b32_e32 v2, 5, v2
	v_add_lshl_u32 v2, v2, v1, 2
	ds_bpermute_b32 v2, v2, v3
	v_cmp_lt_u32_e32 vcc, v5, v6
	s_waitcnt lgkmcnt(0)
	v_add_f32_e32 v2, v3, v2
	v_cndmask_b32_e32 v2, v3, v2, vcc
	v_cmp_eq_u32_e32 vcc, 0, v1
	s_and_saveexec_b64 s[2:3], vcc
	s_cbranch_execz .LBB36_8
; %bb.7:
	v_lshrrev_b32_e32 v3, 4, v0
	v_and_b32_e32 v3, 60, v3
	ds_write_b32 v3, v2
.LBB36_8:
	s_or_b64 exec, exec, s[2:3]
	v_cmp_gt_u32_e32 vcc, 16, v0
	s_waitcnt lgkmcnt(0)
	s_barrier
	s_and_saveexec_b64 s[14:15], vcc
	s_cbranch_execz .LBB36_10
; %bb.9:
	v_lshlrev_b32_e32 v2, 2, v1
	ds_read_b32 v2, v2
	v_and_b32_e32 v3, 15, v1
	v_cmp_ne_u32_e32 vcc, 15, v3
	v_add_u32_e32 v6, 63, v4
	v_lshrrev_b32_e32 v6, 6, v6
	v_addc_co_u32_e32 v5, vcc, 0, v1, vcc
	v_lshlrev_b32_e32 v5, 2, v5
	s_waitcnt lgkmcnt(0)
	ds_bpermute_b32 v5, v5, v2
	v_add_u32_e32 v7, 1, v3
	v_cmp_gt_u32_e64 s[2:3], 14, v3
	v_cmp_lt_u32_e32 vcc, v7, v6
	v_add_u32_e32 v8, 2, v3
	v_cndmask_b32_e64 v7, 0, 1, s[2:3]
	s_waitcnt lgkmcnt(0)
	v_add_f32_e32 v5, v2, v5
	v_lshlrev_b32_e32 v7, 1, v7
	v_cndmask_b32_e32 v5, v2, v5, vcc
	v_add_lshl_u32 v7, v7, v1, 2
	ds_bpermute_b32 v7, v7, v5
	v_cmp_lt_u32_e64 s[2:3], v8, v6
	v_add_u32_e32 v8, 4, v3
	s_waitcnt lgkmcnt(0)
	v_add_f32_e32 v7, v5, v7
	v_cndmask_b32_e64 v5, v5, v7, s[2:3]
	v_cmp_gt_u32_e64 s[2:3], 12, v3
	s_nop 1
	v_cndmask_b32_e64 v7, 0, 1, s[2:3]
	v_lshlrev_b32_e32 v7, 2, v7
	v_add_lshl_u32 v7, v7, v1, 2
	ds_bpermute_b32 v7, v7, v5
	v_cmp_lt_u32_e64 s[2:3], v8, v6
	s_waitcnt lgkmcnt(0)
	v_add_f32_e32 v7, v5, v7
	v_cndmask_b32_e64 v5, v5, v7, s[2:3]
	v_cmp_gt_u32_e64 s[2:3], 8, v3
	v_add_u32_e32 v3, 8, v3
	s_nop 0
	v_cndmask_b32_e64 v7, 0, 1, s[2:3]
	v_lshlrev_b32_e32 v7, 3, v7
	v_add_lshl_u32 v1, v7, v1, 2
	ds_bpermute_b32 v1, v1, v5
	v_cmp_lt_u32_e64 s[2:3], v3, v6
	s_waitcnt lgkmcnt(0)
	v_add_f32_e32 v1, v5, v1
	v_cndmask_b32_e64 v1, v5, v1, s[2:3]
	v_cndmask_b32_e32 v2, v2, v1, vcc
.LBB36_10:
	s_or_b64 exec, exec, s[14:15]
	v_cmp_eq_u32_e32 vcc, 0, v0
	s_and_saveexec_b64 s[2:3], vcc
	s_cbranch_execz .LBB36_12
; %bb.11:
	v_cvt_f32_i32_e32 v1, s18
	s_load_dword s14, s[0:1], 0x30
	v_div_scale_f32 v3, s[0:1], v1, v1, v2
	v_rcp_f32_e32 v5, v3
	v_div_scale_f32 v6, vcc, v2, v1, v2
	s_mov_b32 s0, 0x800000
	v_fma_f32 v7, -v3, v5, 1.0
	v_fmac_f32_e32 v5, v7, v5
	v_mul_f32_e32 v7, v6, v5
	v_fma_f32 v8, -v3, v7, v6
	v_fmac_f32_e32 v7, v8, v5
	v_fma_f32 v3, -v3, v7, v6
	v_div_fmas_f32 v3, v3, v5, v7
	v_div_fixup_f32 v1, v3, v1, v2
	s_waitcnt lgkmcnt(0)
	v_add_f32_e32 v1, s14, v1
	v_mul_f32_e32 v2, 0x4b800000, v1
	v_cmp_gt_f32_e32 vcc, s0, v1
	s_nop 1
	v_cndmask_b32_e32 v1, v1, v2, vcc
	v_rsq_f32_e32 v1, v1
	s_nop 0
	v_mul_f32_e32 v2, 0x45800000, v1
	v_cndmask_b32_e32 v1, v1, v2, vcc
	v_mov_b32_e32 v2, 0
	ds_write_b32 v2, v1 offset:64
.LBB36_12:
	s_or_b64 exec, exec, s[2:3]
	s_waitcnt lgkmcnt(0)
	s_barrier
	s_and_saveexec_b64 s[0:1], s[4:5]
	s_cbranch_execz .LBB36_21
; %bb.13:
	s_load_dword s4, s[10:11], 0x0
	v_mov_b32_e32 v3, 0
	ds_read_b32 v5, v3 offset:64
	s_mov_b64 s[0:1], 0
	s_mov_b32 s10, 0x43f00000
	s_waitcnt lgkmcnt(0)
	v_div_scale_f32 v1, s[2:3], s4, s4, 1.0
	v_rcp_f32_e32 v2, v1
	v_div_scale_f32 v6, vcc, 1.0, s4, 1.0
	s_mov_b32 s11, 0x3c7fffff
	v_fma_f32 v7, -v1, v2, 1.0
	v_fmac_f32_e32 v2, v7, v2
	v_mul_f32_e32 v7, v6, v2
	v_fma_f32 v8, -v1, v7, v6
	v_fmac_f32_e32 v7, v8, v2
	v_fma_f32 v1, -v1, v7, v6
	v_div_fmas_f32 v1, v1, v2, v7
	v_div_fixup_f32 v6, v1, s4, 1.0
	s_mov_b32 s14, 0x407ffff
	s_mov_b32 s15, 0x46800000
	s_movk_i32 s16, 0x80
	s_branch .LBB36_16
.LBB36_14:                              ;   in Loop: Header=BB36_16 Depth=1
	s_or_b64 exec, exec, s[4:5]
.LBB36_15:                              ;   in Loop: Header=BB36_16 Depth=1
	s_or_b64 exec, exec, s[2:3]
	v_add_u32_e32 v0, v0, v4
	v_lshrrev_b32_e32 v1, 24, v1
	v_cmp_le_i32_e32 vcc, s18, v0
	v_and_or_b32 v1, v1, s16, v7
	v_lshl_add_u64 v[8:9], s[12:13], 0, v[2:3]
	s_or_b64 s[0:1], vcc, s[0:1]
	global_store_byte v[8:9], v1, off
	s_andn2_b64 exec, exec, s[0:1]
	s_cbranch_execz .LBB36_21
.LBB36_16:                              ; =>This Inner Loop Header: Depth=1
	v_add_u32_e32 v2, s19, v0
	v_lshl_add_u64 v[8:9], v[2:3], 2, s[6:7]
	v_ashrrev_i32_e32 v1, 31, v0
	global_load_dword v7, v[8:9], off
	v_lshl_add_u64 v[8:9], v[0:1], 2, s[8:9]
	global_load_dword v1, v[8:9], off
	s_waitcnt vmcnt(1)
	v_mul_f32_e32 v7, v7, v5
	s_waitcnt vmcnt(0)
	v_mul_f32_e32 v1, v7, v1
	v_mul_f32_e32 v1, v6, v1
	v_min_f32_e32 v1, 0x43e00000, v1
	v_max_f32_e32 v1, 0xc3e00000, v1
	v_and_b32_e32 v8, 0x7fffffff, v1
	v_cmp_gt_u32_e32 vcc, s10, v8
	v_mov_b32_e32 v7, 0x7f
	s_and_saveexec_b64 s[2:3], vcc
	s_cbranch_execz .LBB36_15
; %bb.17:                               ;   in Loop: Header=BB36_16 Depth=1
	v_cmp_lt_u32_e32 vcc, s11, v8
                                        ; implicit-def: $vgpr7
	s_and_saveexec_b64 s[4:5], vcc
	s_xor_b64 s[4:5], exec, s[4:5]
; %bb.18:                               ;   in Loop: Header=BB36_16 Depth=1
	v_bfe_u32 v7, v1, 20, 1
	v_add3_u32 v7, v1, v7, s14
	v_lshrrev_b32_e32 v7, 20, v7
; %bb.19:                               ;   in Loop: Header=BB36_16 Depth=1
	s_andn2_saveexec_b64 s[4:5], s[4:5]
	s_cbranch_execz .LBB36_14
; %bb.20:                               ;   in Loop: Header=BB36_16 Depth=1
	v_add_f32_e64 v7, |v1|, s15
	s_branch .LBB36_14
.LBB36_21:
	s_endpgm
	.section	.rodata,"a",@progbits
	.p2align	6, 0x0
	.amdhsa_kernel _ZN4vllm42fused_add_rms_norm_static_fp8_quant_kernelIfLi0EN3c1013Float8_e4m3fnEEENSt9enable_ifIXooeqT0_Li0Entsr12_typeConvertIT_EE6existsEvE4typeEPT1_PS4_iS9_PKS4_PKffii
		.amdhsa_group_segment_fixed_size 68
		.amdhsa_private_segment_fixed_size 0
		.amdhsa_kernarg_size 320
		.amdhsa_user_sgpr_count 2
		.amdhsa_user_sgpr_dispatch_ptr 0
		.amdhsa_user_sgpr_queue_ptr 0
		.amdhsa_user_sgpr_kernarg_segment_ptr 1
		.amdhsa_user_sgpr_dispatch_id 0
		.amdhsa_user_sgpr_kernarg_preload_length 0
		.amdhsa_user_sgpr_kernarg_preload_offset 0
		.amdhsa_user_sgpr_private_segment_size 0
		.amdhsa_uses_dynamic_stack 0
		.amdhsa_enable_private_segment 0
		.amdhsa_system_sgpr_workgroup_id_x 1
		.amdhsa_system_sgpr_workgroup_id_y 0
		.amdhsa_system_sgpr_workgroup_id_z 0
		.amdhsa_system_sgpr_workgroup_info 0
		.amdhsa_system_vgpr_workitem_id 0
		.amdhsa_next_free_vgpr 10
		.amdhsa_next_free_sgpr 21
		.amdhsa_accum_offset 12
		.amdhsa_reserve_vcc 1
		.amdhsa_float_round_mode_32 0
		.amdhsa_float_round_mode_16_64 0
		.amdhsa_float_denorm_mode_32 3
		.amdhsa_float_denorm_mode_16_64 3
		.amdhsa_dx10_clamp 1
		.amdhsa_ieee_mode 1
		.amdhsa_fp16_overflow 0
		.amdhsa_tg_split 0
		.amdhsa_exception_fp_ieee_invalid_op 0
		.amdhsa_exception_fp_denorm_src 0
		.amdhsa_exception_fp_ieee_div_zero 0
		.amdhsa_exception_fp_ieee_overflow 0
		.amdhsa_exception_fp_ieee_underflow 0
		.amdhsa_exception_fp_ieee_inexact 0
		.amdhsa_exception_int_div_zero 0
	.end_amdhsa_kernel
	.section	.text._ZN4vllm42fused_add_rms_norm_static_fp8_quant_kernelIfLi0EN3c1013Float8_e4m3fnEEENSt9enable_ifIXooeqT0_Li0Entsr12_typeConvertIT_EE6existsEvE4typeEPT1_PS4_iS9_PKS4_PKffii,"axG",@progbits,_ZN4vllm42fused_add_rms_norm_static_fp8_quant_kernelIfLi0EN3c1013Float8_e4m3fnEEENSt9enable_ifIXooeqT0_Li0Entsr12_typeConvertIT_EE6existsEvE4typeEPT1_PS4_iS9_PKS4_PKffii,comdat
.Lfunc_end36:
	.size	_ZN4vllm42fused_add_rms_norm_static_fp8_quant_kernelIfLi0EN3c1013Float8_e4m3fnEEENSt9enable_ifIXooeqT0_Li0Entsr12_typeConvertIT_EE6existsEvE4typeEPT1_PS4_iS9_PKS4_PKffii, .Lfunc_end36-_ZN4vllm42fused_add_rms_norm_static_fp8_quant_kernelIfLi0EN3c1013Float8_e4m3fnEEENSt9enable_ifIXooeqT0_Li0Entsr12_typeConvertIT_EE6existsEvE4typeEPT1_PS4_iS9_PKS4_PKffii
                                        ; -- End function
	.section	.AMDGPU.csdata,"",@progbits
; Kernel info:
; codeLenInByte = 1480
; NumSgprs: 27
; NumVgprs: 10
; NumAgprs: 0
; TotalNumVgprs: 10
; ScratchSize: 0
; MemoryBound: 0
; FloatMode: 240
; IeeeMode: 1
; LDSByteSize: 68 bytes/workgroup (compile time only)
; SGPRBlocks: 3
; VGPRBlocks: 1
; NumSGPRsForWavesPerEU: 27
; NumVGPRsForWavesPerEU: 10
; AccumOffset: 12
; Occupancy: 8
; WaveLimiterHint : 0
; COMPUTE_PGM_RSRC2:SCRATCH_EN: 0
; COMPUTE_PGM_RSRC2:USER_SGPR: 2
; COMPUTE_PGM_RSRC2:TRAP_HANDLER: 0
; COMPUTE_PGM_RSRC2:TGID_X_EN: 1
; COMPUTE_PGM_RSRC2:TGID_Y_EN: 0
; COMPUTE_PGM_RSRC2:TGID_Z_EN: 0
; COMPUTE_PGM_RSRC2:TIDIG_COMP_CNT: 0
; COMPUTE_PGM_RSRC3_GFX90A:ACCUM_OFFSET: 2
; COMPUTE_PGM_RSRC3_GFX90A:TG_SPLIT: 0
	.section	.text._ZN4vllm42fused_add_rms_norm_static_fp8_quant_kernelIfLi0EN3c1015Float8_e4m3fnuzEEENSt9enable_ifIXooeqT0_Li0Entsr12_typeConvertIT_EE6existsEvE4typeEPT1_PS4_iS9_PKS4_PKffii,"axG",@progbits,_ZN4vllm42fused_add_rms_norm_static_fp8_quant_kernelIfLi0EN3c1015Float8_e4m3fnuzEEENSt9enable_ifIXooeqT0_Li0Entsr12_typeConvertIT_EE6existsEvE4typeEPT1_PS4_iS9_PKS4_PKffii,comdat
	.protected	_ZN4vllm42fused_add_rms_norm_static_fp8_quant_kernelIfLi0EN3c1015Float8_e4m3fnuzEEENSt9enable_ifIXooeqT0_Li0Entsr12_typeConvertIT_EE6existsEvE4typeEPT1_PS4_iS9_PKS4_PKffii ; -- Begin function _ZN4vllm42fused_add_rms_norm_static_fp8_quant_kernelIfLi0EN3c1015Float8_e4m3fnuzEEENSt9enable_ifIXooeqT0_Li0Entsr12_typeConvertIT_EE6existsEvE4typeEPT1_PS4_iS9_PKS4_PKffii
	.globl	_ZN4vllm42fused_add_rms_norm_static_fp8_quant_kernelIfLi0EN3c1015Float8_e4m3fnuzEEENSt9enable_ifIXooeqT0_Li0Entsr12_typeConvertIT_EE6existsEvE4typeEPT1_PS4_iS9_PKS4_PKffii
	.p2align	8
	.type	_ZN4vllm42fused_add_rms_norm_static_fp8_quant_kernelIfLi0EN3c1015Float8_e4m3fnuzEEENSt9enable_ifIXooeqT0_Li0Entsr12_typeConvertIT_EE6existsEvE4typeEPT1_PS4_iS9_PKS4_PKffii,@function
_ZN4vllm42fused_add_rms_norm_static_fp8_quant_kernelIfLi0EN3c1015Float8_e4m3fnuzEEENSt9enable_ifIXooeqT0_Li0Entsr12_typeConvertIT_EE6existsEvE4typeEPT1_PS4_iS9_PKS4_PKffii: ; @_ZN4vllm42fused_add_rms_norm_static_fp8_quant_kernelIfLi0EN3c1015Float8_e4m3fnuzEEENSt9enable_ifIXooeqT0_Li0Entsr12_typeConvertIT_EE6existsEvE4typeEPT1_PS4_iS9_PKS4_PKffii
; %bb.0:
	s_load_dword s20, s[0:1], 0x38
	s_load_dwordx2 s[6:7], s[0:1], 0x18
                                        ; implicit-def: $sgpr16
                                        ; implicit-def: $sgpr3
	s_waitcnt lgkmcnt(0)
	v_cmp_gt_i32_e64 s[4:5], s20, v0
	v_cmp_le_i32_e32 vcc, s20, v0
	s_and_saveexec_b64 s[8:9], vcc
	s_xor_b64 s[8:9], exec, s[8:9]
	s_cbranch_execz .LBB37_2
; %bb.1:
	s_load_dword s3, s[0:1], 0x4c
	s_mov_b32 s16, 0
	s_waitcnt lgkmcnt(0)
	s_and_b32 s3, s3, 0xffff
.LBB37_2:
	s_or_saveexec_b64 s[14:15], s[8:9]
	s_load_dwordx2 s[12:13], s[0:1], 0x0
	s_load_dwordx4 s[8:11], s[0:1], 0x20
	v_mov_b32_e32 v5, s16
	v_mov_b32_e32 v4, s3
	s_mul_i32 s21, s2, s20
	s_xor_b64 exec, exec, s[14:15]
	s_cbranch_execz .LBB37_6
; %bb.3:
	s_load_dword s3, s[0:1], 0x10
	s_load_dword s22, s[0:1], 0x4c
	s_load_dwordx2 s[16:17], s[0:1], 0x8
	s_mov_b64 s[18:19], 0
	v_mov_b32_e32 v3, 0
	s_waitcnt lgkmcnt(0)
	s_mul_i32 s3, s2, s3
	s_and_b32 s2, s22, 0xffff
	v_mov_b32_e32 v5, 0
	v_mov_b32_e32 v1, v0
.LBB37_4:                               ; =>This Inner Loop Header: Depth=1
	v_add_u32_e32 v2, s3, v1
	v_lshl_add_u64 v[6:7], v[2:3], 2, s[16:17]
	v_add_u32_e32 v2, s21, v1
	global_load_dword v4, v[6:7], off
	v_lshl_add_u64 v[6:7], v[2:3], 2, s[6:7]
	global_load_dword v2, v[6:7], off
	v_add_u32_e32 v1, s2, v1
	v_cmp_le_i32_e32 vcc, s20, v1
	s_or_b64 s[18:19], vcc, s[18:19]
	s_waitcnt vmcnt(0)
	v_add_f32_e32 v2, v4, v2
	v_fmac_f32_e32 v5, v2, v2
	global_store_dword v[6:7], v2, off
	s_andn2_b64 exec, exec, s[18:19]
	s_cbranch_execnz .LBB37_4
; %bb.5:
	s_or_b64 exec, exec, s[18:19]
	v_mov_b32_e32 v4, s2
.LBB37_6:
	s_or_b64 exec, exec, s[14:15]
	v_mbcnt_lo_u32_b32 v1, -1, 0
	v_mbcnt_hi_u32_b32 v1, -1, v1
	v_and_b32_e32 v2, 63, v1
	v_cmp_ne_u32_e32 vcc, 63, v2
	v_and_b32_e32 v6, 0x3c0, v0
	v_sub_u32_e64 v6, v4, v6 clamp
	v_addc_co_u32_e32 v3, vcc, 0, v1, vcc
	v_lshlrev_b32_e32 v3, 2, v3
	ds_bpermute_b32 v3, v3, v5
	v_add_u32_e32 v7, 1, v1
	v_cmp_lt_u32_e32 vcc, v7, v6
	v_add_u32_e32 v7, 2, v1
	s_waitcnt lgkmcnt(0)
	v_add_f32_e32 v3, v5, v3
	v_cndmask_b32_e32 v3, v5, v3, vcc
	v_cmp_gt_u32_e32 vcc, 62, v2
	s_nop 1
	v_cndmask_b32_e64 v5, 0, 1, vcc
	v_lshlrev_b32_e32 v5, 1, v5
	v_add_lshl_u32 v5, v5, v1, 2
	ds_bpermute_b32 v5, v5, v3
	v_cmp_lt_u32_e32 vcc, v7, v6
	v_add_u32_e32 v7, 4, v1
	s_waitcnt lgkmcnt(0)
	v_add_f32_e32 v5, v3, v5
	v_cndmask_b32_e32 v3, v3, v5, vcc
	v_cmp_gt_u32_e32 vcc, 60, v2
	s_nop 1
	v_cndmask_b32_e64 v5, 0, 1, vcc
	v_lshlrev_b32_e32 v5, 2, v5
	v_add_lshl_u32 v5, v5, v1, 2
	ds_bpermute_b32 v5, v5, v3
	;; [unrolled: 11-line block ×4, first 2 shown]
	v_cmp_lt_u32_e32 vcc, v7, v6
	s_waitcnt lgkmcnt(0)
	v_add_f32_e32 v5, v3, v5
	v_cndmask_b32_e32 v3, v3, v5, vcc
	v_cmp_gt_u32_e32 vcc, 32, v2
	v_add_u32_e32 v5, 32, v1
	s_nop 0
	v_cndmask_b32_e64 v2, 0, 1, vcc
	v_lshlrev_b32_e32 v2, 5, v2
	v_add_lshl_u32 v2, v2, v1, 2
	ds_bpermute_b32 v2, v2, v3
	v_cmp_lt_u32_e32 vcc, v5, v6
	s_waitcnt lgkmcnt(0)
	v_add_f32_e32 v2, v3, v2
	v_cndmask_b32_e32 v2, v3, v2, vcc
	v_cmp_eq_u32_e32 vcc, 0, v1
	s_and_saveexec_b64 s[2:3], vcc
	s_cbranch_execz .LBB37_8
; %bb.7:
	v_lshrrev_b32_e32 v3, 4, v0
	v_and_b32_e32 v3, 60, v3
	ds_write_b32 v3, v2
.LBB37_8:
	s_or_b64 exec, exec, s[2:3]
	v_cmp_gt_u32_e32 vcc, 16, v0
	s_waitcnt lgkmcnt(0)
	s_barrier
	s_and_saveexec_b64 s[14:15], vcc
	s_cbranch_execz .LBB37_10
; %bb.9:
	v_lshlrev_b32_e32 v2, 2, v1
	ds_read_b32 v2, v2
	v_and_b32_e32 v3, 15, v1
	v_cmp_ne_u32_e32 vcc, 15, v3
	v_add_u32_e32 v6, 63, v4
	v_lshrrev_b32_e32 v6, 6, v6
	v_addc_co_u32_e32 v5, vcc, 0, v1, vcc
	v_lshlrev_b32_e32 v5, 2, v5
	s_waitcnt lgkmcnt(0)
	ds_bpermute_b32 v5, v5, v2
	v_add_u32_e32 v7, 1, v3
	v_cmp_gt_u32_e64 s[2:3], 14, v3
	v_cmp_lt_u32_e32 vcc, v7, v6
	v_add_u32_e32 v8, 2, v3
	v_cndmask_b32_e64 v7, 0, 1, s[2:3]
	s_waitcnt lgkmcnt(0)
	v_add_f32_e32 v5, v2, v5
	v_lshlrev_b32_e32 v7, 1, v7
	v_cndmask_b32_e32 v5, v2, v5, vcc
	v_add_lshl_u32 v7, v7, v1, 2
	ds_bpermute_b32 v7, v7, v5
	v_cmp_lt_u32_e64 s[2:3], v8, v6
	v_add_u32_e32 v8, 4, v3
	s_waitcnt lgkmcnt(0)
	v_add_f32_e32 v7, v5, v7
	v_cndmask_b32_e64 v5, v5, v7, s[2:3]
	v_cmp_gt_u32_e64 s[2:3], 12, v3
	s_nop 1
	v_cndmask_b32_e64 v7, 0, 1, s[2:3]
	v_lshlrev_b32_e32 v7, 2, v7
	v_add_lshl_u32 v7, v7, v1, 2
	ds_bpermute_b32 v7, v7, v5
	v_cmp_lt_u32_e64 s[2:3], v8, v6
	s_waitcnt lgkmcnt(0)
	v_add_f32_e32 v7, v5, v7
	v_cndmask_b32_e64 v5, v5, v7, s[2:3]
	v_cmp_gt_u32_e64 s[2:3], 8, v3
	v_add_u32_e32 v3, 8, v3
	s_nop 0
	v_cndmask_b32_e64 v7, 0, 1, s[2:3]
	v_lshlrev_b32_e32 v7, 3, v7
	v_add_lshl_u32 v1, v7, v1, 2
	ds_bpermute_b32 v1, v1, v5
	v_cmp_lt_u32_e64 s[2:3], v3, v6
	s_waitcnt lgkmcnt(0)
	v_add_f32_e32 v1, v5, v1
	v_cndmask_b32_e64 v1, v5, v1, s[2:3]
	v_cndmask_b32_e32 v2, v2, v1, vcc
.LBB37_10:
	s_or_b64 exec, exec, s[14:15]
	v_cmp_eq_u32_e32 vcc, 0, v0
	s_and_saveexec_b64 s[2:3], vcc
	s_cbranch_execz .LBB37_12
; %bb.11:
	v_cvt_f32_i32_e32 v1, s20
	s_load_dword s14, s[0:1], 0x30
	v_div_scale_f32 v3, s[0:1], v1, v1, v2
	v_rcp_f32_e32 v5, v3
	v_div_scale_f32 v6, vcc, v2, v1, v2
	s_mov_b32 s0, 0x800000
	v_fma_f32 v7, -v3, v5, 1.0
	v_fmac_f32_e32 v5, v7, v5
	v_mul_f32_e32 v7, v6, v5
	v_fma_f32 v8, -v3, v7, v6
	v_fmac_f32_e32 v7, v8, v5
	v_fma_f32 v3, -v3, v7, v6
	v_div_fmas_f32 v3, v3, v5, v7
	v_div_fixup_f32 v1, v3, v1, v2
	s_waitcnt lgkmcnt(0)
	v_add_f32_e32 v1, s14, v1
	v_mul_f32_e32 v2, 0x4b800000, v1
	v_cmp_gt_f32_e32 vcc, s0, v1
	s_nop 1
	v_cndmask_b32_e32 v1, v1, v2, vcc
	v_rsq_f32_e32 v1, v1
	s_nop 0
	v_mul_f32_e32 v2, 0x45800000, v1
	v_cndmask_b32_e32 v1, v1, v2, vcc
	v_mov_b32_e32 v2, 0
	ds_write_b32 v2, v1 offset:64
.LBB37_12:
	s_or_b64 exec, exec, s[2:3]
	s_waitcnt lgkmcnt(0)
	s_barrier
	s_and_saveexec_b64 s[0:1], s[4:5]
	s_cbranch_execz .LBB37_15
; %bb.13:
	s_load_dword s4, s[10:11], 0x0
	v_mov_b32_e32 v3, 0
	ds_read_b32 v5, v3 offset:64
	s_mov_b64 s[0:1], 0
	s_waitcnt lgkmcnt(0)
	v_div_scale_f32 v1, s[2:3], s4, s4, 1.0
	v_rcp_f32_e32 v2, v1
	v_div_scale_f32 v6, vcc, 1.0, s4, 1.0
	s_mov_b32 s2, 0x7f800000
	v_fma_f32 v7, -v1, v2, 1.0
	v_fmac_f32_e32 v2, v7, v2
	v_mul_f32_e32 v7, v6, v2
	v_fma_f32 v8, -v1, v7, v6
	v_fmac_f32_e32 v7, v8, v2
	v_fma_f32 v1, -v1, v7, v6
	v_div_fmas_f32 v1, v1, v2, v7
	v_div_fixup_f32 v6, v1, s4, 1.0
	s_mov_b32 s3, 0x43700000
	v_mov_b32_e32 v7, 0xc3700000
.LBB37_14:                              ; =>This Inner Loop Header: Depth=1
	v_add_u32_e32 v2, s21, v0
	v_ashrrev_i32_e32 v1, 31, v0
	v_lshl_add_u64 v[8:9], v[2:3], 2, s[6:7]
	v_lshl_add_u64 v[10:11], v[0:1], 2, s[8:9]
	global_load_dword v1, v[8:9], off
	global_load_dword v12, v[10:11], off
	v_mov_b32_e32 v8, v3
	v_add_u32_e32 v0, v0, v4
	s_waitcnt vmcnt(1)
	v_mul_f32_e32 v1, v1, v5
	s_waitcnt vmcnt(0)
	v_mul_f32_e32 v1, v1, v12
	v_mul_f32_e32 v1, v6, v1
	v_min_f32_e32 v1, 0x43600000, v1
	v_max_f32_e32 v1, 0xc3600000, v1
	v_med3_f32 v9, v1, s3, v7
	v_cmp_nlg_f32_e64 vcc, |v1|, s2
	s_nop 1
	v_cndmask_b32_e32 v1, v9, v1, vcc
	v_cvt_pk_fp8_f32 v8, v1, v1
	v_cmp_le_i32_e32 vcc, s20, v0
	s_or_b64 s[0:1], vcc, s[0:1]
	global_store_byte v2, v8, s[12:13]
	s_andn2_b64 exec, exec, s[0:1]
	s_cbranch_execnz .LBB37_14
.LBB37_15:
	s_endpgm
	.section	.rodata,"a",@progbits
	.p2align	6, 0x0
	.amdhsa_kernel _ZN4vllm42fused_add_rms_norm_static_fp8_quant_kernelIfLi0EN3c1015Float8_e4m3fnuzEEENSt9enable_ifIXooeqT0_Li0Entsr12_typeConvertIT_EE6existsEvE4typeEPT1_PS4_iS9_PKS4_PKffii
		.amdhsa_group_segment_fixed_size 68
		.amdhsa_private_segment_fixed_size 0
		.amdhsa_kernarg_size 320
		.amdhsa_user_sgpr_count 2
		.amdhsa_user_sgpr_dispatch_ptr 0
		.amdhsa_user_sgpr_queue_ptr 0
		.amdhsa_user_sgpr_kernarg_segment_ptr 1
		.amdhsa_user_sgpr_dispatch_id 0
		.amdhsa_user_sgpr_kernarg_preload_length 0
		.amdhsa_user_sgpr_kernarg_preload_offset 0
		.amdhsa_user_sgpr_private_segment_size 0
		.amdhsa_uses_dynamic_stack 0
		.amdhsa_enable_private_segment 0
		.amdhsa_system_sgpr_workgroup_id_x 1
		.amdhsa_system_sgpr_workgroup_id_y 0
		.amdhsa_system_sgpr_workgroup_id_z 0
		.amdhsa_system_sgpr_workgroup_info 0
		.amdhsa_system_vgpr_workitem_id 0
		.amdhsa_next_free_vgpr 13
		.amdhsa_next_free_sgpr 23
		.amdhsa_accum_offset 16
		.amdhsa_reserve_vcc 1
		.amdhsa_float_round_mode_32 0
		.amdhsa_float_round_mode_16_64 0
		.amdhsa_float_denorm_mode_32 3
		.amdhsa_float_denorm_mode_16_64 3
		.amdhsa_dx10_clamp 1
		.amdhsa_ieee_mode 1
		.amdhsa_fp16_overflow 0
		.amdhsa_tg_split 0
		.amdhsa_exception_fp_ieee_invalid_op 0
		.amdhsa_exception_fp_denorm_src 0
		.amdhsa_exception_fp_ieee_div_zero 0
		.amdhsa_exception_fp_ieee_overflow 0
		.amdhsa_exception_fp_ieee_underflow 0
		.amdhsa_exception_fp_ieee_inexact 0
		.amdhsa_exception_int_div_zero 0
	.end_amdhsa_kernel
	.section	.text._ZN4vllm42fused_add_rms_norm_static_fp8_quant_kernelIfLi0EN3c1015Float8_e4m3fnuzEEENSt9enable_ifIXooeqT0_Li0Entsr12_typeConvertIT_EE6existsEvE4typeEPT1_PS4_iS9_PKS4_PKffii,"axG",@progbits,_ZN4vllm42fused_add_rms_norm_static_fp8_quant_kernelIfLi0EN3c1015Float8_e4m3fnuzEEENSt9enable_ifIXooeqT0_Li0Entsr12_typeConvertIT_EE6existsEvE4typeEPT1_PS4_iS9_PKS4_PKffii,comdat
.Lfunc_end37:
	.size	_ZN4vllm42fused_add_rms_norm_static_fp8_quant_kernelIfLi0EN3c1015Float8_e4m3fnuzEEENSt9enable_ifIXooeqT0_Li0Entsr12_typeConvertIT_EE6existsEvE4typeEPT1_PS4_iS9_PKS4_PKffii, .Lfunc_end37-_ZN4vllm42fused_add_rms_norm_static_fp8_quant_kernelIfLi0EN3c1015Float8_e4m3fnuzEEENSt9enable_ifIXooeqT0_Li0Entsr12_typeConvertIT_EE6existsEvE4typeEPT1_PS4_iS9_PKS4_PKffii
                                        ; -- End function
	.section	.AMDGPU.csdata,"",@progbits
; Kernel info:
; codeLenInByte = 1392
; NumSgprs: 29
; NumVgprs: 13
; NumAgprs: 0
; TotalNumVgprs: 13
; ScratchSize: 0
; MemoryBound: 0
; FloatMode: 240
; IeeeMode: 1
; LDSByteSize: 68 bytes/workgroup (compile time only)
; SGPRBlocks: 3
; VGPRBlocks: 1
; NumSGPRsForWavesPerEU: 29
; NumVGPRsForWavesPerEU: 13
; AccumOffset: 16
; Occupancy: 8
; WaveLimiterHint : 0
; COMPUTE_PGM_RSRC2:SCRATCH_EN: 0
; COMPUTE_PGM_RSRC2:USER_SGPR: 2
; COMPUTE_PGM_RSRC2:TRAP_HANDLER: 0
; COMPUTE_PGM_RSRC2:TGID_X_EN: 1
; COMPUTE_PGM_RSRC2:TGID_Y_EN: 0
; COMPUTE_PGM_RSRC2:TGID_Z_EN: 0
; COMPUTE_PGM_RSRC2:TIDIG_COMP_CNT: 0
; COMPUTE_PGM_RSRC3_GFX90A:ACCUM_OFFSET: 3
; COMPUTE_PGM_RSRC3_GFX90A:TG_SPLIT: 0
	.section	.text._ZN4vllm42fused_add_rms_norm_static_fp8_quant_kernelIN3c104HalfELi0ENS1_13Float8_e4m3fnEEENSt9enable_ifIXooeqT0_Li0Entsr12_typeConvertIT_EE6existsEvE4typeEPT1_PS5_iSA_PKS5_PKffii,"axG",@progbits,_ZN4vllm42fused_add_rms_norm_static_fp8_quant_kernelIN3c104HalfELi0ENS1_13Float8_e4m3fnEEENSt9enable_ifIXooeqT0_Li0Entsr12_typeConvertIT_EE6existsEvE4typeEPT1_PS5_iSA_PKS5_PKffii,comdat
	.protected	_ZN4vllm42fused_add_rms_norm_static_fp8_quant_kernelIN3c104HalfELi0ENS1_13Float8_e4m3fnEEENSt9enable_ifIXooeqT0_Li0Entsr12_typeConvertIT_EE6existsEvE4typeEPT1_PS5_iSA_PKS5_PKffii ; -- Begin function _ZN4vllm42fused_add_rms_norm_static_fp8_quant_kernelIN3c104HalfELi0ENS1_13Float8_e4m3fnEEENSt9enable_ifIXooeqT0_Li0Entsr12_typeConvertIT_EE6existsEvE4typeEPT1_PS5_iSA_PKS5_PKffii
	.globl	_ZN4vllm42fused_add_rms_norm_static_fp8_quant_kernelIN3c104HalfELi0ENS1_13Float8_e4m3fnEEENSt9enable_ifIXooeqT0_Li0Entsr12_typeConvertIT_EE6existsEvE4typeEPT1_PS5_iSA_PKS5_PKffii
	.p2align	8
	.type	_ZN4vllm42fused_add_rms_norm_static_fp8_quant_kernelIN3c104HalfELi0ENS1_13Float8_e4m3fnEEENSt9enable_ifIXooeqT0_Li0Entsr12_typeConvertIT_EE6existsEvE4typeEPT1_PS5_iSA_PKS5_PKffii,@function
_ZN4vllm42fused_add_rms_norm_static_fp8_quant_kernelIN3c104HalfELi0ENS1_13Float8_e4m3fnEEENSt9enable_ifIXooeqT0_Li0Entsr12_typeConvertIT_EE6existsEvE4typeEPT1_PS5_iSA_PKS5_PKffii: ; @_ZN4vllm42fused_add_rms_norm_static_fp8_quant_kernelIN3c104HalfELi0ENS1_13Float8_e4m3fnEEENSt9enable_ifIXooeqT0_Li0Entsr12_typeConvertIT_EE6existsEvE4typeEPT1_PS5_iSA_PKS5_PKffii
; %bb.0:
	s_load_dword s18, s[0:1], 0x38
	s_load_dwordx2 s[6:7], s[0:1], 0x18
                                        ; implicit-def: $sgpr14
                                        ; implicit-def: $sgpr3
	s_waitcnt lgkmcnt(0)
	v_cmp_gt_i32_e64 s[4:5], s18, v0
	v_cmp_le_i32_e32 vcc, s18, v0
	s_and_saveexec_b64 s[8:9], vcc
	s_xor_b64 s[8:9], exec, s[8:9]
	s_cbranch_execz .LBB38_2
; %bb.1:
	s_load_dword s3, s[0:1], 0x4c
	s_mov_b32 s14, 0
	s_waitcnt lgkmcnt(0)
	s_and_b32 s3, s3, 0xffff
.LBB38_2:
	s_or_saveexec_b64 s[12:13], s[8:9]
	s_load_dwordx4 s[8:11], s[0:1], 0x20
	v_mov_b32_e32 v5, s14
	v_mov_b32_e32 v4, s3
	s_mul_i32 s19, s2, s18
	s_xor_b64 exec, exec, s[12:13]
	s_cbranch_execz .LBB38_6
; %bb.3:
	s_load_dword s3, s[0:1], 0x10
	s_load_dword s20, s[0:1], 0x4c
	s_load_dwordx2 s[14:15], s[0:1], 0x8
	s_mov_b64 s[16:17], 0
	v_mov_b32_e32 v3, 0
	s_waitcnt lgkmcnt(0)
	s_mul_i32 s3, s2, s3
	s_and_b32 s2, s20, 0xffff
	v_mov_b32_e32 v5, 0
	v_mov_b32_e32 v1, v0
.LBB38_4:                               ; =>This Inner Loop Header: Depth=1
	v_add_u32_e32 v2, s3, v1
	v_lshl_add_u64 v[6:7], v[2:3], 1, s[14:15]
	v_add_u32_e32 v2, s19, v1
	global_load_ushort v4, v[6:7], off
	v_lshl_add_u64 v[6:7], v[2:3], 1, s[6:7]
	global_load_ushort v2, v[6:7], off
	v_add_u32_e32 v1, s2, v1
	v_cmp_le_i32_e32 vcc, s18, v1
	s_or_b64 s[16:17], vcc, s[16:17]
	s_waitcnt vmcnt(0)
	v_add_f16_e32 v2, v4, v2
	v_fma_mix_f32 v5, v2, v2, v5 op_sel_hi:[1,1,0]
	global_store_short v[6:7], v2, off
	s_andn2_b64 exec, exec, s[16:17]
	s_cbranch_execnz .LBB38_4
; %bb.5:
	s_or_b64 exec, exec, s[16:17]
	v_mov_b32_e32 v4, s2
.LBB38_6:
	s_or_b64 exec, exec, s[12:13]
	v_mbcnt_lo_u32_b32 v1, -1, 0
	v_mbcnt_hi_u32_b32 v1, -1, v1
	v_and_b32_e32 v2, 63, v1
	v_cmp_ne_u32_e32 vcc, 63, v2
	v_and_b32_e32 v6, 0x3c0, v0
	v_sub_u32_e64 v6, v4, v6 clamp
	v_addc_co_u32_e32 v3, vcc, 0, v1, vcc
	v_lshlrev_b32_e32 v3, 2, v3
	ds_bpermute_b32 v3, v3, v5
	v_add_u32_e32 v7, 1, v1
	v_cmp_lt_u32_e32 vcc, v7, v6
	v_add_u32_e32 v7, 2, v1
	s_load_dwordx2 s[12:13], s[0:1], 0x0
	s_waitcnt lgkmcnt(0)
	v_add_f32_e32 v3, v5, v3
	v_cndmask_b32_e32 v3, v5, v3, vcc
	v_cmp_gt_u32_e32 vcc, 62, v2
	s_nop 1
	v_cndmask_b32_e64 v5, 0, 1, vcc
	v_lshlrev_b32_e32 v5, 1, v5
	v_add_lshl_u32 v5, v5, v1, 2
	ds_bpermute_b32 v5, v5, v3
	v_cmp_lt_u32_e32 vcc, v7, v6
	v_add_u32_e32 v7, 4, v1
	s_waitcnt lgkmcnt(0)
	v_add_f32_e32 v5, v3, v5
	v_cndmask_b32_e32 v3, v3, v5, vcc
	v_cmp_gt_u32_e32 vcc, 60, v2
	s_nop 1
	v_cndmask_b32_e64 v5, 0, 1, vcc
	v_lshlrev_b32_e32 v5, 2, v5
	v_add_lshl_u32 v5, v5, v1, 2
	ds_bpermute_b32 v5, v5, v3
	v_cmp_lt_u32_e32 vcc, v7, v6
	v_add_u32_e32 v7, 8, v1
	;; [unrolled: 11-line block ×3, first 2 shown]
	s_waitcnt lgkmcnt(0)
	v_add_f32_e32 v5, v3, v5
	v_cndmask_b32_e32 v3, v3, v5, vcc
	v_cmp_gt_u32_e32 vcc, 48, v2
	s_nop 1
	v_cndmask_b32_e64 v5, 0, 1, vcc
	v_lshlrev_b32_e32 v5, 4, v5
	v_add_lshl_u32 v5, v5, v1, 2
	ds_bpermute_b32 v5, v5, v3
	v_cmp_lt_u32_e32 vcc, v7, v6
	s_waitcnt lgkmcnt(0)
	v_add_f32_e32 v5, v3, v5
	v_cndmask_b32_e32 v3, v3, v5, vcc
	v_cmp_gt_u32_e32 vcc, 32, v2
	v_add_u32_e32 v5, 32, v1
	s_nop 0
	v_cndmask_b32_e64 v2, 0, 1, vcc
	v_lshlrev_b32_e32 v2, 5, v2
	v_add_lshl_u32 v2, v2, v1, 2
	ds_bpermute_b32 v2, v2, v3
	v_cmp_lt_u32_e32 vcc, v5, v6
	s_waitcnt lgkmcnt(0)
	v_add_f32_e32 v2, v3, v2
	v_cndmask_b32_e32 v2, v3, v2, vcc
	v_cmp_eq_u32_e32 vcc, 0, v1
	s_and_saveexec_b64 s[2:3], vcc
	s_cbranch_execz .LBB38_8
; %bb.7:
	v_lshrrev_b32_e32 v3, 4, v0
	v_and_b32_e32 v3, 60, v3
	ds_write_b32 v3, v2
.LBB38_8:
	s_or_b64 exec, exec, s[2:3]
	v_cmp_gt_u32_e32 vcc, 16, v0
	s_waitcnt lgkmcnt(0)
	s_barrier
	s_and_saveexec_b64 s[14:15], vcc
	s_cbranch_execz .LBB38_10
; %bb.9:
	v_lshlrev_b32_e32 v2, 2, v1
	ds_read_b32 v2, v2
	v_and_b32_e32 v3, 15, v1
	v_cmp_ne_u32_e32 vcc, 15, v3
	v_add_u32_e32 v6, 63, v4
	v_lshrrev_b32_e32 v6, 6, v6
	v_addc_co_u32_e32 v5, vcc, 0, v1, vcc
	v_lshlrev_b32_e32 v5, 2, v5
	s_waitcnt lgkmcnt(0)
	ds_bpermute_b32 v5, v5, v2
	v_add_u32_e32 v7, 1, v3
	v_cmp_gt_u32_e64 s[2:3], 14, v3
	v_cmp_lt_u32_e32 vcc, v7, v6
	v_add_u32_e32 v8, 2, v3
	v_cndmask_b32_e64 v7, 0, 1, s[2:3]
	s_waitcnt lgkmcnt(0)
	v_add_f32_e32 v5, v2, v5
	v_lshlrev_b32_e32 v7, 1, v7
	v_cndmask_b32_e32 v5, v2, v5, vcc
	v_add_lshl_u32 v7, v7, v1, 2
	ds_bpermute_b32 v7, v7, v5
	v_cmp_lt_u32_e64 s[2:3], v8, v6
	v_add_u32_e32 v8, 4, v3
	s_waitcnt lgkmcnt(0)
	v_add_f32_e32 v7, v5, v7
	v_cndmask_b32_e64 v5, v5, v7, s[2:3]
	v_cmp_gt_u32_e64 s[2:3], 12, v3
	s_nop 1
	v_cndmask_b32_e64 v7, 0, 1, s[2:3]
	v_lshlrev_b32_e32 v7, 2, v7
	v_add_lshl_u32 v7, v7, v1, 2
	ds_bpermute_b32 v7, v7, v5
	v_cmp_lt_u32_e64 s[2:3], v8, v6
	s_waitcnt lgkmcnt(0)
	v_add_f32_e32 v7, v5, v7
	v_cndmask_b32_e64 v5, v5, v7, s[2:3]
	v_cmp_gt_u32_e64 s[2:3], 8, v3
	v_add_u32_e32 v3, 8, v3
	s_nop 0
	v_cndmask_b32_e64 v7, 0, 1, s[2:3]
	v_lshlrev_b32_e32 v7, 3, v7
	v_add_lshl_u32 v1, v7, v1, 2
	ds_bpermute_b32 v1, v1, v5
	v_cmp_lt_u32_e64 s[2:3], v3, v6
	s_waitcnt lgkmcnt(0)
	v_add_f32_e32 v1, v5, v1
	v_cndmask_b32_e64 v1, v5, v1, s[2:3]
	v_cndmask_b32_e32 v2, v2, v1, vcc
.LBB38_10:
	s_or_b64 exec, exec, s[14:15]
	v_cmp_eq_u32_e32 vcc, 0, v0
	s_and_saveexec_b64 s[2:3], vcc
	s_cbranch_execz .LBB38_12
; %bb.11:
	v_cvt_f32_i32_e32 v1, s18
	s_load_dword s14, s[0:1], 0x30
	v_div_scale_f32 v3, s[0:1], v1, v1, v2
	v_rcp_f32_e32 v5, v3
	v_div_scale_f32 v6, vcc, v2, v1, v2
	s_mov_b32 s0, 0x800000
	v_fma_f32 v7, -v3, v5, 1.0
	v_fmac_f32_e32 v5, v7, v5
	v_mul_f32_e32 v7, v6, v5
	v_fma_f32 v8, -v3, v7, v6
	v_fmac_f32_e32 v7, v8, v5
	v_fma_f32 v3, -v3, v7, v6
	v_div_fmas_f32 v3, v3, v5, v7
	v_div_fixup_f32 v1, v3, v1, v2
	s_waitcnt lgkmcnt(0)
	v_add_f32_e32 v1, s14, v1
	v_mul_f32_e32 v2, 0x4b800000, v1
	v_cmp_gt_f32_e32 vcc, s0, v1
	s_nop 1
	v_cndmask_b32_e32 v1, v1, v2, vcc
	v_rsq_f32_e32 v1, v1
	s_nop 0
	v_mul_f32_e32 v2, 0x45800000, v1
	v_cndmask_b32_e32 v1, v1, v2, vcc
	v_mov_b32_e32 v2, 0
	ds_write_b32 v2, v1 offset:64
.LBB38_12:
	s_or_b64 exec, exec, s[2:3]
	s_waitcnt lgkmcnt(0)
	s_barrier
	s_and_saveexec_b64 s[0:1], s[4:5]
	s_cbranch_execz .LBB38_21
; %bb.13:
	s_load_dword s4, s[10:11], 0x0
	v_mov_b32_e32 v3, 0
	ds_read_b32 v5, v3 offset:64
	s_mov_b64 s[0:1], 0
	s_mov_b32 s10, 0x43f00000
	s_waitcnt lgkmcnt(0)
	v_div_scale_f32 v1, s[2:3], s4, s4, 1.0
	v_rcp_f32_e32 v2, v1
	v_div_scale_f32 v6, vcc, 1.0, s4, 1.0
	s_mov_b32 s11, 0x3c7fffff
	v_fma_f32 v7, -v1, v2, 1.0
	v_fmac_f32_e32 v2, v7, v2
	v_mul_f32_e32 v7, v6, v2
	v_fma_f32 v8, -v1, v7, v6
	v_fmac_f32_e32 v7, v8, v2
	v_fma_f32 v1, -v1, v7, v6
	v_div_fmas_f32 v1, v1, v2, v7
	v_div_fixup_f32 v6, v1, s4, 1.0
	s_mov_b32 s14, 0x407ffff
	s_mov_b32 s15, 0x46800000
	s_movk_i32 s16, 0x80
	s_branch .LBB38_16
.LBB38_14:                              ;   in Loop: Header=BB38_16 Depth=1
	s_or_b64 exec, exec, s[4:5]
.LBB38_15:                              ;   in Loop: Header=BB38_16 Depth=1
	s_or_b64 exec, exec, s[2:3]
	v_add_u32_e32 v0, v0, v4
	v_lshrrev_b32_e32 v1, 24, v1
	v_cmp_le_i32_e32 vcc, s18, v0
	v_and_or_b32 v1, v1, s16, v7
	v_lshl_add_u64 v[8:9], s[12:13], 0, v[2:3]
	s_or_b64 s[0:1], vcc, s[0:1]
	global_store_byte v[8:9], v1, off
	s_andn2_b64 exec, exec, s[0:1]
	s_cbranch_execz .LBB38_21
.LBB38_16:                              ; =>This Inner Loop Header: Depth=1
	v_add_u32_e32 v2, s19, v0
	v_lshl_add_u64 v[8:9], v[2:3], 1, s[6:7]
	v_ashrrev_i32_e32 v1, 31, v0
	global_load_ushort v7, v[8:9], off
	v_lshl_add_u64 v[8:9], v[0:1], 1, s[8:9]
	global_load_ushort v1, v[8:9], off
	s_waitcnt vmcnt(1)
	v_fma_mixlo_f16 v7, v5, v7, 0 op_sel_hi:[0,1,0]
	s_waitcnt vmcnt(0)
	v_mul_f16_e32 v1, v1, v7
	v_cvt_f32_f16_e32 v1, v1
	v_mov_b32_e32 v7, 0x7f
	v_mul_f32_e32 v1, v6, v1
	v_min_f32_e32 v1, 0x43e00000, v1
	v_max_f32_e32 v1, 0xc3e00000, v1
	v_and_b32_e32 v8, 0x7fffffff, v1
	v_cmp_gt_u32_e32 vcc, s10, v8
	s_and_saveexec_b64 s[2:3], vcc
	s_cbranch_execz .LBB38_15
; %bb.17:                               ;   in Loop: Header=BB38_16 Depth=1
	v_cmp_lt_u32_e32 vcc, s11, v8
                                        ; implicit-def: $vgpr7
	s_and_saveexec_b64 s[4:5], vcc
	s_xor_b64 s[4:5], exec, s[4:5]
; %bb.18:                               ;   in Loop: Header=BB38_16 Depth=1
	v_bfe_u32 v7, v1, 20, 1
	v_add3_u32 v7, v1, v7, s14
	v_lshrrev_b32_e32 v7, 20, v7
; %bb.19:                               ;   in Loop: Header=BB38_16 Depth=1
	s_andn2_saveexec_b64 s[4:5], s[4:5]
	s_cbranch_execz .LBB38_14
; %bb.20:                               ;   in Loop: Header=BB38_16 Depth=1
	v_add_f32_e64 v7, |v1|, s15
	s_branch .LBB38_14
.LBB38_21:
	s_endpgm
	.section	.rodata,"a",@progbits
	.p2align	6, 0x0
	.amdhsa_kernel _ZN4vllm42fused_add_rms_norm_static_fp8_quant_kernelIN3c104HalfELi0ENS1_13Float8_e4m3fnEEENSt9enable_ifIXooeqT0_Li0Entsr12_typeConvertIT_EE6existsEvE4typeEPT1_PS5_iSA_PKS5_PKffii
		.amdhsa_group_segment_fixed_size 68
		.amdhsa_private_segment_fixed_size 0
		.amdhsa_kernarg_size 320
		.amdhsa_user_sgpr_count 2
		.amdhsa_user_sgpr_dispatch_ptr 0
		.amdhsa_user_sgpr_queue_ptr 0
		.amdhsa_user_sgpr_kernarg_segment_ptr 1
		.amdhsa_user_sgpr_dispatch_id 0
		.amdhsa_user_sgpr_kernarg_preload_length 0
		.amdhsa_user_sgpr_kernarg_preload_offset 0
		.amdhsa_user_sgpr_private_segment_size 0
		.amdhsa_uses_dynamic_stack 0
		.amdhsa_enable_private_segment 0
		.amdhsa_system_sgpr_workgroup_id_x 1
		.amdhsa_system_sgpr_workgroup_id_y 0
		.amdhsa_system_sgpr_workgroup_id_z 0
		.amdhsa_system_sgpr_workgroup_info 0
		.amdhsa_system_vgpr_workitem_id 0
		.amdhsa_next_free_vgpr 10
		.amdhsa_next_free_sgpr 21
		.amdhsa_accum_offset 12
		.amdhsa_reserve_vcc 1
		.amdhsa_float_round_mode_32 0
		.amdhsa_float_round_mode_16_64 0
		.amdhsa_float_denorm_mode_32 3
		.amdhsa_float_denorm_mode_16_64 3
		.amdhsa_dx10_clamp 1
		.amdhsa_ieee_mode 1
		.amdhsa_fp16_overflow 0
		.amdhsa_tg_split 0
		.amdhsa_exception_fp_ieee_invalid_op 0
		.amdhsa_exception_fp_denorm_src 0
		.amdhsa_exception_fp_ieee_div_zero 0
		.amdhsa_exception_fp_ieee_overflow 0
		.amdhsa_exception_fp_ieee_underflow 0
		.amdhsa_exception_fp_ieee_inexact 0
		.amdhsa_exception_int_div_zero 0
	.end_amdhsa_kernel
	.section	.text._ZN4vllm42fused_add_rms_norm_static_fp8_quant_kernelIN3c104HalfELi0ENS1_13Float8_e4m3fnEEENSt9enable_ifIXooeqT0_Li0Entsr12_typeConvertIT_EE6existsEvE4typeEPT1_PS5_iSA_PKS5_PKffii,"axG",@progbits,_ZN4vllm42fused_add_rms_norm_static_fp8_quant_kernelIN3c104HalfELi0ENS1_13Float8_e4m3fnEEENSt9enable_ifIXooeqT0_Li0Entsr12_typeConvertIT_EE6existsEvE4typeEPT1_PS5_iSA_PKS5_PKffii,comdat
.Lfunc_end38:
	.size	_ZN4vllm42fused_add_rms_norm_static_fp8_quant_kernelIN3c104HalfELi0ENS1_13Float8_e4m3fnEEENSt9enable_ifIXooeqT0_Li0Entsr12_typeConvertIT_EE6existsEvE4typeEPT1_PS5_iSA_PKS5_PKffii, .Lfunc_end38-_ZN4vllm42fused_add_rms_norm_static_fp8_quant_kernelIN3c104HalfELi0ENS1_13Float8_e4m3fnEEENSt9enable_ifIXooeqT0_Li0Entsr12_typeConvertIT_EE6existsEvE4typeEPT1_PS5_iSA_PKS5_PKffii
                                        ; -- End function
	.section	.AMDGPU.csdata,"",@progbits
; Kernel info:
; codeLenInByte = 1492
; NumSgprs: 27
; NumVgprs: 10
; NumAgprs: 0
; TotalNumVgprs: 10
; ScratchSize: 0
; MemoryBound: 0
; FloatMode: 240
; IeeeMode: 1
; LDSByteSize: 68 bytes/workgroup (compile time only)
; SGPRBlocks: 3
; VGPRBlocks: 1
; NumSGPRsForWavesPerEU: 27
; NumVGPRsForWavesPerEU: 10
; AccumOffset: 12
; Occupancy: 8
; WaveLimiterHint : 0
; COMPUTE_PGM_RSRC2:SCRATCH_EN: 0
; COMPUTE_PGM_RSRC2:USER_SGPR: 2
; COMPUTE_PGM_RSRC2:TRAP_HANDLER: 0
; COMPUTE_PGM_RSRC2:TGID_X_EN: 1
; COMPUTE_PGM_RSRC2:TGID_Y_EN: 0
; COMPUTE_PGM_RSRC2:TGID_Z_EN: 0
; COMPUTE_PGM_RSRC2:TIDIG_COMP_CNT: 0
; COMPUTE_PGM_RSRC3_GFX90A:ACCUM_OFFSET: 2
; COMPUTE_PGM_RSRC3_GFX90A:TG_SPLIT: 0
	.section	.text._ZN4vllm42fused_add_rms_norm_static_fp8_quant_kernelIN3c104HalfELi0ENS1_15Float8_e4m3fnuzEEENSt9enable_ifIXooeqT0_Li0Entsr12_typeConvertIT_EE6existsEvE4typeEPT1_PS5_iSA_PKS5_PKffii,"axG",@progbits,_ZN4vllm42fused_add_rms_norm_static_fp8_quant_kernelIN3c104HalfELi0ENS1_15Float8_e4m3fnuzEEENSt9enable_ifIXooeqT0_Li0Entsr12_typeConvertIT_EE6existsEvE4typeEPT1_PS5_iSA_PKS5_PKffii,comdat
	.protected	_ZN4vllm42fused_add_rms_norm_static_fp8_quant_kernelIN3c104HalfELi0ENS1_15Float8_e4m3fnuzEEENSt9enable_ifIXooeqT0_Li0Entsr12_typeConvertIT_EE6existsEvE4typeEPT1_PS5_iSA_PKS5_PKffii ; -- Begin function _ZN4vllm42fused_add_rms_norm_static_fp8_quant_kernelIN3c104HalfELi0ENS1_15Float8_e4m3fnuzEEENSt9enable_ifIXooeqT0_Li0Entsr12_typeConvertIT_EE6existsEvE4typeEPT1_PS5_iSA_PKS5_PKffii
	.globl	_ZN4vllm42fused_add_rms_norm_static_fp8_quant_kernelIN3c104HalfELi0ENS1_15Float8_e4m3fnuzEEENSt9enable_ifIXooeqT0_Li0Entsr12_typeConvertIT_EE6existsEvE4typeEPT1_PS5_iSA_PKS5_PKffii
	.p2align	8
	.type	_ZN4vllm42fused_add_rms_norm_static_fp8_quant_kernelIN3c104HalfELi0ENS1_15Float8_e4m3fnuzEEENSt9enable_ifIXooeqT0_Li0Entsr12_typeConvertIT_EE6existsEvE4typeEPT1_PS5_iSA_PKS5_PKffii,@function
_ZN4vllm42fused_add_rms_norm_static_fp8_quant_kernelIN3c104HalfELi0ENS1_15Float8_e4m3fnuzEEENSt9enable_ifIXooeqT0_Li0Entsr12_typeConvertIT_EE6existsEvE4typeEPT1_PS5_iSA_PKS5_PKffii: ; @_ZN4vllm42fused_add_rms_norm_static_fp8_quant_kernelIN3c104HalfELi0ENS1_15Float8_e4m3fnuzEEENSt9enable_ifIXooeqT0_Li0Entsr12_typeConvertIT_EE6existsEvE4typeEPT1_PS5_iSA_PKS5_PKffii
; %bb.0:
	s_load_dword s20, s[0:1], 0x38
	s_load_dwordx2 s[6:7], s[0:1], 0x18
                                        ; implicit-def: $sgpr16
                                        ; implicit-def: $sgpr3
	s_waitcnt lgkmcnt(0)
	v_cmp_gt_i32_e64 s[4:5], s20, v0
	v_cmp_le_i32_e32 vcc, s20, v0
	s_and_saveexec_b64 s[8:9], vcc
	s_xor_b64 s[8:9], exec, s[8:9]
	s_cbranch_execz .LBB39_2
; %bb.1:
	s_load_dword s3, s[0:1], 0x4c
	s_mov_b32 s16, 0
	s_waitcnt lgkmcnt(0)
	s_and_b32 s3, s3, 0xffff
.LBB39_2:
	s_or_saveexec_b64 s[14:15], s[8:9]
	s_load_dwordx2 s[12:13], s[0:1], 0x0
	s_load_dwordx4 s[8:11], s[0:1], 0x20
	v_mov_b32_e32 v5, s16
	v_mov_b32_e32 v4, s3
	s_mul_i32 s21, s2, s20
	s_xor_b64 exec, exec, s[14:15]
	s_cbranch_execz .LBB39_6
; %bb.3:
	s_load_dword s3, s[0:1], 0x10
	s_load_dword s22, s[0:1], 0x4c
	s_load_dwordx2 s[16:17], s[0:1], 0x8
	s_mov_b64 s[18:19], 0
	v_mov_b32_e32 v3, 0
	s_waitcnt lgkmcnt(0)
	s_mul_i32 s3, s2, s3
	s_and_b32 s2, s22, 0xffff
	v_mov_b32_e32 v5, 0
	v_mov_b32_e32 v1, v0
.LBB39_4:                               ; =>This Inner Loop Header: Depth=1
	v_add_u32_e32 v2, s3, v1
	v_lshl_add_u64 v[6:7], v[2:3], 1, s[16:17]
	v_add_u32_e32 v2, s21, v1
	global_load_ushort v4, v[6:7], off
	v_lshl_add_u64 v[6:7], v[2:3], 1, s[6:7]
	global_load_ushort v2, v[6:7], off
	v_add_u32_e32 v1, s2, v1
	v_cmp_le_i32_e32 vcc, s20, v1
	s_or_b64 s[18:19], vcc, s[18:19]
	s_waitcnt vmcnt(0)
	v_add_f16_e32 v2, v4, v2
	v_fma_mix_f32 v5, v2, v2, v5 op_sel_hi:[1,1,0]
	global_store_short v[6:7], v2, off
	s_andn2_b64 exec, exec, s[18:19]
	s_cbranch_execnz .LBB39_4
; %bb.5:
	s_or_b64 exec, exec, s[18:19]
	v_mov_b32_e32 v4, s2
.LBB39_6:
	s_or_b64 exec, exec, s[14:15]
	v_mbcnt_lo_u32_b32 v1, -1, 0
	v_mbcnt_hi_u32_b32 v1, -1, v1
	v_and_b32_e32 v2, 63, v1
	v_cmp_ne_u32_e32 vcc, 63, v2
	v_and_b32_e32 v6, 0x3c0, v0
	v_sub_u32_e64 v6, v4, v6 clamp
	v_addc_co_u32_e32 v3, vcc, 0, v1, vcc
	v_lshlrev_b32_e32 v3, 2, v3
	ds_bpermute_b32 v3, v3, v5
	v_add_u32_e32 v7, 1, v1
	v_cmp_lt_u32_e32 vcc, v7, v6
	v_add_u32_e32 v7, 2, v1
	s_waitcnt lgkmcnt(0)
	v_add_f32_e32 v3, v5, v3
	v_cndmask_b32_e32 v3, v5, v3, vcc
	v_cmp_gt_u32_e32 vcc, 62, v2
	s_nop 1
	v_cndmask_b32_e64 v5, 0, 1, vcc
	v_lshlrev_b32_e32 v5, 1, v5
	v_add_lshl_u32 v5, v5, v1, 2
	ds_bpermute_b32 v5, v5, v3
	v_cmp_lt_u32_e32 vcc, v7, v6
	v_add_u32_e32 v7, 4, v1
	s_waitcnt lgkmcnt(0)
	v_add_f32_e32 v5, v3, v5
	v_cndmask_b32_e32 v3, v3, v5, vcc
	v_cmp_gt_u32_e32 vcc, 60, v2
	s_nop 1
	v_cndmask_b32_e64 v5, 0, 1, vcc
	v_lshlrev_b32_e32 v5, 2, v5
	v_add_lshl_u32 v5, v5, v1, 2
	ds_bpermute_b32 v5, v5, v3
	;; [unrolled: 11-line block ×4, first 2 shown]
	v_cmp_lt_u32_e32 vcc, v7, v6
	s_waitcnt lgkmcnt(0)
	v_add_f32_e32 v5, v3, v5
	v_cndmask_b32_e32 v3, v3, v5, vcc
	v_cmp_gt_u32_e32 vcc, 32, v2
	v_add_u32_e32 v5, 32, v1
	s_nop 0
	v_cndmask_b32_e64 v2, 0, 1, vcc
	v_lshlrev_b32_e32 v2, 5, v2
	v_add_lshl_u32 v2, v2, v1, 2
	ds_bpermute_b32 v2, v2, v3
	v_cmp_lt_u32_e32 vcc, v5, v6
	s_waitcnt lgkmcnt(0)
	v_add_f32_e32 v2, v3, v2
	v_cndmask_b32_e32 v2, v3, v2, vcc
	v_cmp_eq_u32_e32 vcc, 0, v1
	s_and_saveexec_b64 s[2:3], vcc
	s_cbranch_execz .LBB39_8
; %bb.7:
	v_lshrrev_b32_e32 v3, 4, v0
	v_and_b32_e32 v3, 60, v3
	ds_write_b32 v3, v2
.LBB39_8:
	s_or_b64 exec, exec, s[2:3]
	v_cmp_gt_u32_e32 vcc, 16, v0
	s_waitcnt lgkmcnt(0)
	s_barrier
	s_and_saveexec_b64 s[14:15], vcc
	s_cbranch_execz .LBB39_10
; %bb.9:
	v_lshlrev_b32_e32 v2, 2, v1
	ds_read_b32 v2, v2
	v_and_b32_e32 v3, 15, v1
	v_cmp_ne_u32_e32 vcc, 15, v3
	v_add_u32_e32 v6, 63, v4
	v_lshrrev_b32_e32 v6, 6, v6
	v_addc_co_u32_e32 v5, vcc, 0, v1, vcc
	v_lshlrev_b32_e32 v5, 2, v5
	s_waitcnt lgkmcnt(0)
	ds_bpermute_b32 v5, v5, v2
	v_add_u32_e32 v7, 1, v3
	v_cmp_gt_u32_e64 s[2:3], 14, v3
	v_cmp_lt_u32_e32 vcc, v7, v6
	v_add_u32_e32 v8, 2, v3
	v_cndmask_b32_e64 v7, 0, 1, s[2:3]
	s_waitcnt lgkmcnt(0)
	v_add_f32_e32 v5, v2, v5
	v_lshlrev_b32_e32 v7, 1, v7
	v_cndmask_b32_e32 v5, v2, v5, vcc
	v_add_lshl_u32 v7, v7, v1, 2
	ds_bpermute_b32 v7, v7, v5
	v_cmp_lt_u32_e64 s[2:3], v8, v6
	v_add_u32_e32 v8, 4, v3
	s_waitcnt lgkmcnt(0)
	v_add_f32_e32 v7, v5, v7
	v_cndmask_b32_e64 v5, v5, v7, s[2:3]
	v_cmp_gt_u32_e64 s[2:3], 12, v3
	s_nop 1
	v_cndmask_b32_e64 v7, 0, 1, s[2:3]
	v_lshlrev_b32_e32 v7, 2, v7
	v_add_lshl_u32 v7, v7, v1, 2
	ds_bpermute_b32 v7, v7, v5
	v_cmp_lt_u32_e64 s[2:3], v8, v6
	s_waitcnt lgkmcnt(0)
	v_add_f32_e32 v7, v5, v7
	v_cndmask_b32_e64 v5, v5, v7, s[2:3]
	v_cmp_gt_u32_e64 s[2:3], 8, v3
	v_add_u32_e32 v3, 8, v3
	s_nop 0
	v_cndmask_b32_e64 v7, 0, 1, s[2:3]
	v_lshlrev_b32_e32 v7, 3, v7
	v_add_lshl_u32 v1, v7, v1, 2
	ds_bpermute_b32 v1, v1, v5
	v_cmp_lt_u32_e64 s[2:3], v3, v6
	s_waitcnt lgkmcnt(0)
	v_add_f32_e32 v1, v5, v1
	v_cndmask_b32_e64 v1, v5, v1, s[2:3]
	v_cndmask_b32_e32 v2, v2, v1, vcc
.LBB39_10:
	s_or_b64 exec, exec, s[14:15]
	v_cmp_eq_u32_e32 vcc, 0, v0
	s_and_saveexec_b64 s[2:3], vcc
	s_cbranch_execz .LBB39_12
; %bb.11:
	v_cvt_f32_i32_e32 v1, s20
	s_load_dword s14, s[0:1], 0x30
	v_div_scale_f32 v3, s[0:1], v1, v1, v2
	v_rcp_f32_e32 v5, v3
	v_div_scale_f32 v6, vcc, v2, v1, v2
	s_mov_b32 s0, 0x800000
	v_fma_f32 v7, -v3, v5, 1.0
	v_fmac_f32_e32 v5, v7, v5
	v_mul_f32_e32 v7, v6, v5
	v_fma_f32 v8, -v3, v7, v6
	v_fmac_f32_e32 v7, v8, v5
	v_fma_f32 v3, -v3, v7, v6
	v_div_fmas_f32 v3, v3, v5, v7
	v_div_fixup_f32 v1, v3, v1, v2
	s_waitcnt lgkmcnt(0)
	v_add_f32_e32 v1, s14, v1
	v_mul_f32_e32 v2, 0x4b800000, v1
	v_cmp_gt_f32_e32 vcc, s0, v1
	s_nop 1
	v_cndmask_b32_e32 v1, v1, v2, vcc
	v_rsq_f32_e32 v1, v1
	s_nop 0
	v_mul_f32_e32 v2, 0x45800000, v1
	v_cndmask_b32_e32 v1, v1, v2, vcc
	v_mov_b32_e32 v2, 0
	ds_write_b32 v2, v1 offset:64
.LBB39_12:
	s_or_b64 exec, exec, s[2:3]
	s_waitcnt lgkmcnt(0)
	s_barrier
	s_and_saveexec_b64 s[0:1], s[4:5]
	s_cbranch_execz .LBB39_15
; %bb.13:
	s_load_dword s4, s[10:11], 0x0
	v_mov_b32_e32 v3, 0
	ds_read_b32 v5, v3 offset:64
	s_mov_b64 s[0:1], 0
	s_waitcnt lgkmcnt(0)
	v_div_scale_f32 v1, s[2:3], s4, s4, 1.0
	v_rcp_f32_e32 v2, v1
	v_div_scale_f32 v6, vcc, 1.0, s4, 1.0
	s_mov_b32 s2, 0x7f800000
	v_fma_f32 v7, -v1, v2, 1.0
	v_fmac_f32_e32 v2, v7, v2
	v_mul_f32_e32 v7, v6, v2
	v_fma_f32 v8, -v1, v7, v6
	v_fmac_f32_e32 v7, v8, v2
	v_fma_f32 v1, -v1, v7, v6
	v_div_fmas_f32 v1, v1, v2, v7
	v_div_fixup_f32 v6, v1, s4, 1.0
	s_mov_b32 s3, 0x43700000
	v_mov_b32_e32 v7, 0xc3700000
.LBB39_14:                              ; =>This Inner Loop Header: Depth=1
	v_add_u32_e32 v2, s21, v0
	v_ashrrev_i32_e32 v1, 31, v0
	v_lshl_add_u64 v[8:9], v[2:3], 1, s[6:7]
	v_lshl_add_u64 v[10:11], v[0:1], 1, s[8:9]
	global_load_ushort v1, v[8:9], off
	global_load_ushort v12, v[10:11], off
	v_mov_b32_e32 v8, v3
	v_add_u32_e32 v0, v0, v4
	s_waitcnt vmcnt(1)
	v_fma_mixlo_f16 v1, v5, v1, 0 op_sel_hi:[0,1,0]
	s_waitcnt vmcnt(0)
	v_mul_f16_e32 v1, v12, v1
	v_cvt_f32_f16_e32 v1, v1
	v_mul_f32_e32 v1, v6, v1
	v_min_f32_e32 v1, 0x43600000, v1
	v_max_f32_e32 v1, 0xc3600000, v1
	v_med3_f32 v9, v1, s3, v7
	v_cmp_nlg_f32_e64 vcc, |v1|, s2
	s_nop 1
	v_cndmask_b32_e32 v1, v9, v1, vcc
	v_cvt_pk_fp8_f32 v8, v1, v1
	v_cmp_le_i32_e32 vcc, s20, v0
	s_or_b64 s[0:1], vcc, s[0:1]
	global_store_byte v2, v8, s[12:13]
	s_andn2_b64 exec, exec, s[0:1]
	s_cbranch_execnz .LBB39_14
.LBB39_15:
	s_endpgm
	.section	.rodata,"a",@progbits
	.p2align	6, 0x0
	.amdhsa_kernel _ZN4vllm42fused_add_rms_norm_static_fp8_quant_kernelIN3c104HalfELi0ENS1_15Float8_e4m3fnuzEEENSt9enable_ifIXooeqT0_Li0Entsr12_typeConvertIT_EE6existsEvE4typeEPT1_PS5_iSA_PKS5_PKffii
		.amdhsa_group_segment_fixed_size 68
		.amdhsa_private_segment_fixed_size 0
		.amdhsa_kernarg_size 320
		.amdhsa_user_sgpr_count 2
		.amdhsa_user_sgpr_dispatch_ptr 0
		.amdhsa_user_sgpr_queue_ptr 0
		.amdhsa_user_sgpr_kernarg_segment_ptr 1
		.amdhsa_user_sgpr_dispatch_id 0
		.amdhsa_user_sgpr_kernarg_preload_length 0
		.amdhsa_user_sgpr_kernarg_preload_offset 0
		.amdhsa_user_sgpr_private_segment_size 0
		.amdhsa_uses_dynamic_stack 0
		.amdhsa_enable_private_segment 0
		.amdhsa_system_sgpr_workgroup_id_x 1
		.amdhsa_system_sgpr_workgroup_id_y 0
		.amdhsa_system_sgpr_workgroup_id_z 0
		.amdhsa_system_sgpr_workgroup_info 0
		.amdhsa_system_vgpr_workitem_id 0
		.amdhsa_next_free_vgpr 13
		.amdhsa_next_free_sgpr 23
		.amdhsa_accum_offset 16
		.amdhsa_reserve_vcc 1
		.amdhsa_float_round_mode_32 0
		.amdhsa_float_round_mode_16_64 0
		.amdhsa_float_denorm_mode_32 3
		.amdhsa_float_denorm_mode_16_64 3
		.amdhsa_dx10_clamp 1
		.amdhsa_ieee_mode 1
		.amdhsa_fp16_overflow 0
		.amdhsa_tg_split 0
		.amdhsa_exception_fp_ieee_invalid_op 0
		.amdhsa_exception_fp_denorm_src 0
		.amdhsa_exception_fp_ieee_div_zero 0
		.amdhsa_exception_fp_ieee_overflow 0
		.amdhsa_exception_fp_ieee_underflow 0
		.amdhsa_exception_fp_ieee_inexact 0
		.amdhsa_exception_int_div_zero 0
	.end_amdhsa_kernel
	.section	.text._ZN4vllm42fused_add_rms_norm_static_fp8_quant_kernelIN3c104HalfELi0ENS1_15Float8_e4m3fnuzEEENSt9enable_ifIXooeqT0_Li0Entsr12_typeConvertIT_EE6existsEvE4typeEPT1_PS5_iSA_PKS5_PKffii,"axG",@progbits,_ZN4vllm42fused_add_rms_norm_static_fp8_quant_kernelIN3c104HalfELi0ENS1_15Float8_e4m3fnuzEEENSt9enable_ifIXooeqT0_Li0Entsr12_typeConvertIT_EE6existsEvE4typeEPT1_PS5_iSA_PKS5_PKffii,comdat
.Lfunc_end39:
	.size	_ZN4vllm42fused_add_rms_norm_static_fp8_quant_kernelIN3c104HalfELi0ENS1_15Float8_e4m3fnuzEEENSt9enable_ifIXooeqT0_Li0Entsr12_typeConvertIT_EE6existsEvE4typeEPT1_PS5_iSA_PKS5_PKffii, .Lfunc_end39-_ZN4vllm42fused_add_rms_norm_static_fp8_quant_kernelIN3c104HalfELi0ENS1_15Float8_e4m3fnuzEEENSt9enable_ifIXooeqT0_Li0Entsr12_typeConvertIT_EE6existsEvE4typeEPT1_PS5_iSA_PKS5_PKffii
                                        ; -- End function
	.section	.AMDGPU.csdata,"",@progbits
; Kernel info:
; codeLenInByte = 1404
; NumSgprs: 29
; NumVgprs: 13
; NumAgprs: 0
; TotalNumVgprs: 13
; ScratchSize: 0
; MemoryBound: 0
; FloatMode: 240
; IeeeMode: 1
; LDSByteSize: 68 bytes/workgroup (compile time only)
; SGPRBlocks: 3
; VGPRBlocks: 1
; NumSGPRsForWavesPerEU: 29
; NumVGPRsForWavesPerEU: 13
; AccumOffset: 16
; Occupancy: 8
; WaveLimiterHint : 0
; COMPUTE_PGM_RSRC2:SCRATCH_EN: 0
; COMPUTE_PGM_RSRC2:USER_SGPR: 2
; COMPUTE_PGM_RSRC2:TRAP_HANDLER: 0
; COMPUTE_PGM_RSRC2:TGID_X_EN: 1
; COMPUTE_PGM_RSRC2:TGID_Y_EN: 0
; COMPUTE_PGM_RSRC2:TGID_Z_EN: 0
; COMPUTE_PGM_RSRC2:TIDIG_COMP_CNT: 0
; COMPUTE_PGM_RSRC3_GFX90A:ACCUM_OFFSET: 3
; COMPUTE_PGM_RSRC3_GFX90A:TG_SPLIT: 0
	.section	.text._ZN4vllm42fused_add_rms_norm_static_fp8_quant_kernelIN3c108BFloat16ELi0ENS1_13Float8_e4m3fnEEENSt9enable_ifIXooeqT0_Li0Entsr12_typeConvertIT_EE6existsEvE4typeEPT1_PS5_iSA_PKS5_PKffii,"axG",@progbits,_ZN4vllm42fused_add_rms_norm_static_fp8_quant_kernelIN3c108BFloat16ELi0ENS1_13Float8_e4m3fnEEENSt9enable_ifIXooeqT0_Li0Entsr12_typeConvertIT_EE6existsEvE4typeEPT1_PS5_iSA_PKS5_PKffii,comdat
	.protected	_ZN4vllm42fused_add_rms_norm_static_fp8_quant_kernelIN3c108BFloat16ELi0ENS1_13Float8_e4m3fnEEENSt9enable_ifIXooeqT0_Li0Entsr12_typeConvertIT_EE6existsEvE4typeEPT1_PS5_iSA_PKS5_PKffii ; -- Begin function _ZN4vllm42fused_add_rms_norm_static_fp8_quant_kernelIN3c108BFloat16ELi0ENS1_13Float8_e4m3fnEEENSt9enable_ifIXooeqT0_Li0Entsr12_typeConvertIT_EE6existsEvE4typeEPT1_PS5_iSA_PKS5_PKffii
	.globl	_ZN4vllm42fused_add_rms_norm_static_fp8_quant_kernelIN3c108BFloat16ELi0ENS1_13Float8_e4m3fnEEENSt9enable_ifIXooeqT0_Li0Entsr12_typeConvertIT_EE6existsEvE4typeEPT1_PS5_iSA_PKS5_PKffii
	.p2align	8
	.type	_ZN4vllm42fused_add_rms_norm_static_fp8_quant_kernelIN3c108BFloat16ELi0ENS1_13Float8_e4m3fnEEENSt9enable_ifIXooeqT0_Li0Entsr12_typeConvertIT_EE6existsEvE4typeEPT1_PS5_iSA_PKS5_PKffii,@function
_ZN4vllm42fused_add_rms_norm_static_fp8_quant_kernelIN3c108BFloat16ELi0ENS1_13Float8_e4m3fnEEENSt9enable_ifIXooeqT0_Li0Entsr12_typeConvertIT_EE6existsEvE4typeEPT1_PS5_iSA_PKS5_PKffii: ; @_ZN4vllm42fused_add_rms_norm_static_fp8_quant_kernelIN3c108BFloat16ELi0ENS1_13Float8_e4m3fnEEENSt9enable_ifIXooeqT0_Li0Entsr12_typeConvertIT_EE6existsEvE4typeEPT1_PS5_iSA_PKS5_PKffii
; %bb.0:
	s_load_dword s18, s[0:1], 0x38
	s_load_dwordx2 s[6:7], s[0:1], 0x18
                                        ; implicit-def: $sgpr14
                                        ; implicit-def: $sgpr3
	s_waitcnt lgkmcnt(0)
	v_cmp_gt_i32_e64 s[4:5], s18, v0
	v_cmp_le_i32_e32 vcc, s18, v0
	s_and_saveexec_b64 s[8:9], vcc
	s_xor_b64 s[8:9], exec, s[8:9]
	s_cbranch_execz .LBB40_2
; %bb.1:
	s_load_dword s3, s[0:1], 0x4c
	s_mov_b32 s14, 0
	s_waitcnt lgkmcnt(0)
	s_and_b32 s3, s3, 0xffff
.LBB40_2:
	s_or_saveexec_b64 s[12:13], s[8:9]
	s_load_dwordx4 s[8:11], s[0:1], 0x20
	v_mov_b32_e32 v5, s14
	v_mov_b32_e32 v4, s3
	s_mul_i32 s19, s2, s18
	s_xor_b64 exec, exec, s[12:13]
	s_cbranch_execz .LBB40_6
; %bb.3:
	s_load_dword s3, s[0:1], 0x10
	s_load_dword s20, s[0:1], 0x4c
	s_load_dwordx2 s[14:15], s[0:1], 0x8
	s_mov_b64 s[16:17], 0
	v_mov_b32_e32 v3, 0
	s_waitcnt lgkmcnt(0)
	s_mul_i32 s3, s2, s3
	s_and_b32 s2, s20, 0xffff
	s_movk_i32 s20, 0x7fff
	v_mov_b32_e32 v1, 0x7fc0
	v_mov_b32_e32 v5, 0
	;; [unrolled: 1-line block ×3, first 2 shown]
.LBB40_4:                               ; =>This Inner Loop Header: Depth=1
	v_add_u32_e32 v2, s3, v4
	v_lshl_add_u64 v[6:7], v[2:3], 1, s[14:15]
	v_add_u32_e32 v2, s19, v4
	v_lshl_add_u64 v[8:9], v[2:3], 1, s[6:7]
	global_load_ushort v2, v[6:7], off
	global_load_ushort v10, v[8:9], off
	v_add_u32_e32 v4, s2, v4
	v_cmp_le_i32_e32 vcc, s18, v4
	s_or_b64 s[16:17], vcc, s[16:17]
	s_waitcnt vmcnt(1)
	v_lshlrev_b32_e32 v2, 16, v2
	s_waitcnt vmcnt(0)
	v_lshlrev_b32_e32 v6, 16, v10
	v_add_f32_e32 v2, v6, v2
	v_bfe_u32 v6, v2, 16, 1
	v_add3_u32 v6, v2, v6, s20
	v_lshrrev_b32_e32 v6, 16, v6
	v_cmp_o_f32_e32 vcc, v2, v2
	s_nop 1
	v_cndmask_b32_e32 v2, v1, v6, vcc
	v_lshlrev_b32_e32 v6, 16, v2
	v_fmac_f32_e32 v5, v6, v6
	global_store_short v[8:9], v2, off
	s_andn2_b64 exec, exec, s[16:17]
	s_cbranch_execnz .LBB40_4
; %bb.5:
	s_or_b64 exec, exec, s[16:17]
	v_mov_b32_e32 v4, s2
.LBB40_6:
	s_or_b64 exec, exec, s[12:13]
	v_mbcnt_lo_u32_b32 v1, -1, 0
	v_mbcnt_hi_u32_b32 v1, -1, v1
	v_and_b32_e32 v2, 63, v1
	v_cmp_ne_u32_e32 vcc, 63, v2
	v_and_b32_e32 v6, 0x3c0, v0
	v_sub_u32_e64 v6, v4, v6 clamp
	v_addc_co_u32_e32 v3, vcc, 0, v1, vcc
	v_lshlrev_b32_e32 v3, 2, v3
	ds_bpermute_b32 v3, v3, v5
	v_add_u32_e32 v7, 1, v1
	v_cmp_lt_u32_e32 vcc, v7, v6
	v_add_u32_e32 v7, 2, v1
	s_load_dwordx2 s[12:13], s[0:1], 0x0
	s_waitcnt lgkmcnt(0)
	v_add_f32_e32 v3, v5, v3
	v_cndmask_b32_e32 v3, v5, v3, vcc
	v_cmp_gt_u32_e32 vcc, 62, v2
	s_nop 1
	v_cndmask_b32_e64 v5, 0, 1, vcc
	v_lshlrev_b32_e32 v5, 1, v5
	v_add_lshl_u32 v5, v5, v1, 2
	ds_bpermute_b32 v5, v5, v3
	v_cmp_lt_u32_e32 vcc, v7, v6
	v_add_u32_e32 v7, 4, v1
	s_waitcnt lgkmcnt(0)
	v_add_f32_e32 v5, v3, v5
	v_cndmask_b32_e32 v3, v3, v5, vcc
	v_cmp_gt_u32_e32 vcc, 60, v2
	s_nop 1
	v_cndmask_b32_e64 v5, 0, 1, vcc
	v_lshlrev_b32_e32 v5, 2, v5
	v_add_lshl_u32 v5, v5, v1, 2
	ds_bpermute_b32 v5, v5, v3
	v_cmp_lt_u32_e32 vcc, v7, v6
	v_add_u32_e32 v7, 8, v1
	;; [unrolled: 11-line block ×3, first 2 shown]
	s_waitcnt lgkmcnt(0)
	v_add_f32_e32 v5, v3, v5
	v_cndmask_b32_e32 v3, v3, v5, vcc
	v_cmp_gt_u32_e32 vcc, 48, v2
	s_nop 1
	v_cndmask_b32_e64 v5, 0, 1, vcc
	v_lshlrev_b32_e32 v5, 4, v5
	v_add_lshl_u32 v5, v5, v1, 2
	ds_bpermute_b32 v5, v5, v3
	v_cmp_lt_u32_e32 vcc, v7, v6
	s_waitcnt lgkmcnt(0)
	v_add_f32_e32 v5, v3, v5
	v_cndmask_b32_e32 v3, v3, v5, vcc
	v_cmp_gt_u32_e32 vcc, 32, v2
	v_add_u32_e32 v5, 32, v1
	s_nop 0
	v_cndmask_b32_e64 v2, 0, 1, vcc
	v_lshlrev_b32_e32 v2, 5, v2
	v_add_lshl_u32 v2, v2, v1, 2
	ds_bpermute_b32 v2, v2, v3
	v_cmp_lt_u32_e32 vcc, v5, v6
	s_waitcnt lgkmcnt(0)
	v_add_f32_e32 v2, v3, v2
	v_cndmask_b32_e32 v2, v3, v2, vcc
	v_cmp_eq_u32_e32 vcc, 0, v1
	s_and_saveexec_b64 s[2:3], vcc
	s_cbranch_execz .LBB40_8
; %bb.7:
	v_lshrrev_b32_e32 v3, 4, v0
	v_and_b32_e32 v3, 60, v3
	ds_write_b32 v3, v2
.LBB40_8:
	s_or_b64 exec, exec, s[2:3]
	v_cmp_gt_u32_e32 vcc, 16, v0
	s_waitcnt lgkmcnt(0)
	s_barrier
	s_and_saveexec_b64 s[14:15], vcc
	s_cbranch_execz .LBB40_10
; %bb.9:
	v_lshlrev_b32_e32 v2, 2, v1
	ds_read_b32 v2, v2
	v_and_b32_e32 v3, 15, v1
	v_cmp_ne_u32_e32 vcc, 15, v3
	v_add_u32_e32 v6, 63, v4
	v_lshrrev_b32_e32 v6, 6, v6
	v_addc_co_u32_e32 v5, vcc, 0, v1, vcc
	v_lshlrev_b32_e32 v5, 2, v5
	s_waitcnt lgkmcnt(0)
	ds_bpermute_b32 v5, v5, v2
	v_add_u32_e32 v7, 1, v3
	v_cmp_gt_u32_e64 s[2:3], 14, v3
	v_cmp_lt_u32_e32 vcc, v7, v6
	v_add_u32_e32 v8, 2, v3
	v_cndmask_b32_e64 v7, 0, 1, s[2:3]
	s_waitcnt lgkmcnt(0)
	v_add_f32_e32 v5, v2, v5
	v_lshlrev_b32_e32 v7, 1, v7
	v_cndmask_b32_e32 v5, v2, v5, vcc
	v_add_lshl_u32 v7, v7, v1, 2
	ds_bpermute_b32 v7, v7, v5
	v_cmp_lt_u32_e64 s[2:3], v8, v6
	v_add_u32_e32 v8, 4, v3
	s_waitcnt lgkmcnt(0)
	v_add_f32_e32 v7, v5, v7
	v_cndmask_b32_e64 v5, v5, v7, s[2:3]
	v_cmp_gt_u32_e64 s[2:3], 12, v3
	s_nop 1
	v_cndmask_b32_e64 v7, 0, 1, s[2:3]
	v_lshlrev_b32_e32 v7, 2, v7
	v_add_lshl_u32 v7, v7, v1, 2
	ds_bpermute_b32 v7, v7, v5
	v_cmp_lt_u32_e64 s[2:3], v8, v6
	s_waitcnt lgkmcnt(0)
	v_add_f32_e32 v7, v5, v7
	v_cndmask_b32_e64 v5, v5, v7, s[2:3]
	v_cmp_gt_u32_e64 s[2:3], 8, v3
	v_add_u32_e32 v3, 8, v3
	s_nop 0
	v_cndmask_b32_e64 v7, 0, 1, s[2:3]
	v_lshlrev_b32_e32 v7, 3, v7
	v_add_lshl_u32 v1, v7, v1, 2
	ds_bpermute_b32 v1, v1, v5
	v_cmp_lt_u32_e64 s[2:3], v3, v6
	s_waitcnt lgkmcnt(0)
	v_add_f32_e32 v1, v5, v1
	v_cndmask_b32_e64 v1, v5, v1, s[2:3]
	v_cndmask_b32_e32 v2, v2, v1, vcc
.LBB40_10:
	s_or_b64 exec, exec, s[14:15]
	v_cmp_eq_u32_e32 vcc, 0, v0
	s_and_saveexec_b64 s[2:3], vcc
	s_cbranch_execz .LBB40_12
; %bb.11:
	v_cvt_f32_i32_e32 v1, s18
	s_load_dword s14, s[0:1], 0x30
	v_div_scale_f32 v3, s[0:1], v1, v1, v2
	v_rcp_f32_e32 v5, v3
	v_div_scale_f32 v6, vcc, v2, v1, v2
	s_mov_b32 s0, 0x800000
	v_fma_f32 v7, -v3, v5, 1.0
	v_fmac_f32_e32 v5, v7, v5
	v_mul_f32_e32 v7, v6, v5
	v_fma_f32 v8, -v3, v7, v6
	v_fmac_f32_e32 v7, v8, v5
	v_fma_f32 v3, -v3, v7, v6
	v_div_fmas_f32 v3, v3, v5, v7
	v_div_fixup_f32 v1, v3, v1, v2
	s_waitcnt lgkmcnt(0)
	v_add_f32_e32 v1, s14, v1
	v_mul_f32_e32 v2, 0x4b800000, v1
	v_cmp_gt_f32_e32 vcc, s0, v1
	s_nop 1
	v_cndmask_b32_e32 v1, v1, v2, vcc
	v_rsq_f32_e32 v1, v1
	s_nop 0
	v_mul_f32_e32 v2, 0x45800000, v1
	v_cndmask_b32_e32 v1, v1, v2, vcc
	v_mov_b32_e32 v2, 0
	ds_write_b32 v2, v1 offset:64
.LBB40_12:
	s_or_b64 exec, exec, s[2:3]
	s_waitcnt lgkmcnt(0)
	s_barrier
	s_and_saveexec_b64 s[0:1], s[4:5]
	s_cbranch_execz .LBB40_21
; %bb.13:
	s_load_dword s4, s[10:11], 0x0
	v_mov_b32_e32 v3, 0
	ds_read_b32 v5, v3 offset:64
	s_mov_b64 s[0:1], 0
	s_movk_i32 s10, 0x7fff
	s_waitcnt lgkmcnt(0)
	v_div_scale_f32 v1, s[2:3], s4, s4, 1.0
	v_rcp_f32_e32 v2, v1
	v_div_scale_f32 v6, vcc, 1.0, s4, 1.0
	s_mov_b32 s11, 0x43f00000
	v_fma_f32 v7, -v1, v2, 1.0
	v_fmac_f32_e32 v2, v7, v2
	v_mul_f32_e32 v7, v6, v2
	v_fma_f32 v8, -v1, v7, v6
	v_fmac_f32_e32 v7, v8, v2
	v_fma_f32 v1, -v1, v7, v6
	v_div_fmas_f32 v1, v1, v2, v7
	v_div_fixup_f32 v6, v1, s4, 1.0
	v_mov_b32_e32 v7, 0x7fc00000
	s_mov_b32 s14, 0x3c7fffff
	s_mov_b32 s15, 0x407ffff
	;; [unrolled: 1-line block ×3, first 2 shown]
	s_movk_i32 s17, 0x80
	s_branch .LBB40_16
.LBB40_14:                              ;   in Loop: Header=BB40_16 Depth=1
	s_or_b64 exec, exec, s[4:5]
.LBB40_15:                              ;   in Loop: Header=BB40_16 Depth=1
	s_or_b64 exec, exec, s[2:3]
	v_add_u32_e32 v0, v0, v4
	v_lshrrev_b32_e32 v1, 24, v1
	v_cmp_le_i32_e32 vcc, s18, v0
	v_and_or_b32 v1, v1, s17, v8
	v_lshl_add_u64 v[8:9], s[12:13], 0, v[2:3]
	s_or_b64 s[0:1], vcc, s[0:1]
	global_store_byte v[8:9], v1, off
	s_andn2_b64 exec, exec, s[0:1]
	s_cbranch_execz .LBB40_21
.LBB40_16:                              ; =>This Inner Loop Header: Depth=1
	v_add_u32_e32 v2, s19, v0
	v_lshl_add_u64 v[8:9], v[2:3], 1, s[6:7]
	global_load_ushort v10, v[8:9], off
	v_ashrrev_i32_e32 v1, 31, v0
	v_lshl_add_u64 v[8:9], v[0:1], 1, s[8:9]
	global_load_ushort v1, v[8:9], off
	s_waitcnt vmcnt(1)
	v_lshlrev_b32_e32 v8, 16, v10
	v_mul_f32_e32 v8, v5, v8
	v_bfe_u32 v9, v8, 16, 1
	v_add3_u32 v9, v8, v9, s10
	v_and_b32_e32 v9, 0xffff0000, v9
	v_cmp_o_f32_e32 vcc, v8, v8
	s_waitcnt vmcnt(0)
	v_lshlrev_b32_e32 v1, 16, v1
	v_cndmask_b32_e32 v8, v7, v9, vcc
	v_mul_f32_e32 v1, v8, v1
	v_bfe_u32 v8, v1, 16, 1
	v_add3_u32 v8, v1, v8, s10
	v_and_b32_e32 v8, 0xffff0000, v8
	v_cmp_o_f32_e32 vcc, v1, v1
	s_nop 1
	v_cndmask_b32_e32 v1, v7, v8, vcc
	v_mul_f32_e32 v1, v6, v1
	v_min_f32_e32 v1, 0x43e00000, v1
	v_max_f32_e32 v1, 0xc3e00000, v1
	v_and_b32_e32 v9, 0x7fffffff, v1
	v_cmp_gt_u32_e32 vcc, s11, v9
	v_mov_b32_e32 v8, 0x7f
	s_and_saveexec_b64 s[2:3], vcc
	s_cbranch_execz .LBB40_15
; %bb.17:                               ;   in Loop: Header=BB40_16 Depth=1
	v_cmp_lt_u32_e32 vcc, s14, v9
                                        ; implicit-def: $vgpr8
	s_and_saveexec_b64 s[4:5], vcc
	s_xor_b64 s[4:5], exec, s[4:5]
; %bb.18:                               ;   in Loop: Header=BB40_16 Depth=1
	v_bfe_u32 v8, v1, 20, 1
	v_add3_u32 v8, v1, v8, s15
	v_lshrrev_b32_e32 v8, 20, v8
; %bb.19:                               ;   in Loop: Header=BB40_16 Depth=1
	s_andn2_saveexec_b64 s[4:5], s[4:5]
	s_cbranch_execz .LBB40_14
; %bb.20:                               ;   in Loop: Header=BB40_16 Depth=1
	v_add_f32_e64 v8, |v1|, s16
	s_branch .LBB40_14
.LBB40_21:
	s_endpgm
	.section	.rodata,"a",@progbits
	.p2align	6, 0x0
	.amdhsa_kernel _ZN4vllm42fused_add_rms_norm_static_fp8_quant_kernelIN3c108BFloat16ELi0ENS1_13Float8_e4m3fnEEENSt9enable_ifIXooeqT0_Li0Entsr12_typeConvertIT_EE6existsEvE4typeEPT1_PS5_iSA_PKS5_PKffii
		.amdhsa_group_segment_fixed_size 68
		.amdhsa_private_segment_fixed_size 0
		.amdhsa_kernarg_size 320
		.amdhsa_user_sgpr_count 2
		.amdhsa_user_sgpr_dispatch_ptr 0
		.amdhsa_user_sgpr_queue_ptr 0
		.amdhsa_user_sgpr_kernarg_segment_ptr 1
		.amdhsa_user_sgpr_dispatch_id 0
		.amdhsa_user_sgpr_kernarg_preload_length 0
		.amdhsa_user_sgpr_kernarg_preload_offset 0
		.amdhsa_user_sgpr_private_segment_size 0
		.amdhsa_uses_dynamic_stack 0
		.amdhsa_enable_private_segment 0
		.amdhsa_system_sgpr_workgroup_id_x 1
		.amdhsa_system_sgpr_workgroup_id_y 0
		.amdhsa_system_sgpr_workgroup_id_z 0
		.amdhsa_system_sgpr_workgroup_info 0
		.amdhsa_system_vgpr_workitem_id 0
		.amdhsa_next_free_vgpr 11
		.amdhsa_next_free_sgpr 21
		.amdhsa_accum_offset 12
		.amdhsa_reserve_vcc 1
		.amdhsa_float_round_mode_32 0
		.amdhsa_float_round_mode_16_64 0
		.amdhsa_float_denorm_mode_32 3
		.amdhsa_float_denorm_mode_16_64 3
		.amdhsa_dx10_clamp 1
		.amdhsa_ieee_mode 1
		.amdhsa_fp16_overflow 0
		.amdhsa_tg_split 0
		.amdhsa_exception_fp_ieee_invalid_op 0
		.amdhsa_exception_fp_denorm_src 0
		.amdhsa_exception_fp_ieee_div_zero 0
		.amdhsa_exception_fp_ieee_overflow 0
		.amdhsa_exception_fp_ieee_underflow 0
		.amdhsa_exception_fp_ieee_inexact 0
		.amdhsa_exception_int_div_zero 0
	.end_amdhsa_kernel
	.section	.text._ZN4vllm42fused_add_rms_norm_static_fp8_quant_kernelIN3c108BFloat16ELi0ENS1_13Float8_e4m3fnEEENSt9enable_ifIXooeqT0_Li0Entsr12_typeConvertIT_EE6existsEvE4typeEPT1_PS5_iSA_PKS5_PKffii,"axG",@progbits,_ZN4vllm42fused_add_rms_norm_static_fp8_quant_kernelIN3c108BFloat16ELi0ENS1_13Float8_e4m3fnEEENSt9enable_ifIXooeqT0_Li0Entsr12_typeConvertIT_EE6existsEvE4typeEPT1_PS5_iSA_PKS5_PKffii,comdat
.Lfunc_end40:
	.size	_ZN4vllm42fused_add_rms_norm_static_fp8_quant_kernelIN3c108BFloat16ELi0ENS1_13Float8_e4m3fnEEENSt9enable_ifIXooeqT0_Li0Entsr12_typeConvertIT_EE6existsEvE4typeEPT1_PS5_iSA_PKS5_PKffii, .Lfunc_end40-_ZN4vllm42fused_add_rms_norm_static_fp8_quant_kernelIN3c108BFloat16ELi0ENS1_13Float8_e4m3fnEEENSt9enable_ifIXooeqT0_Li0Entsr12_typeConvertIT_EE6existsEvE4typeEPT1_PS5_iSA_PKS5_PKffii
                                        ; -- End function
	.section	.AMDGPU.csdata,"",@progbits
; Kernel info:
; codeLenInByte = 1628
; NumSgprs: 27
; NumVgprs: 11
; NumAgprs: 0
; TotalNumVgprs: 11
; ScratchSize: 0
; MemoryBound: 0
; FloatMode: 240
; IeeeMode: 1
; LDSByteSize: 68 bytes/workgroup (compile time only)
; SGPRBlocks: 3
; VGPRBlocks: 1
; NumSGPRsForWavesPerEU: 27
; NumVGPRsForWavesPerEU: 11
; AccumOffset: 12
; Occupancy: 8
; WaveLimiterHint : 0
; COMPUTE_PGM_RSRC2:SCRATCH_EN: 0
; COMPUTE_PGM_RSRC2:USER_SGPR: 2
; COMPUTE_PGM_RSRC2:TRAP_HANDLER: 0
; COMPUTE_PGM_RSRC2:TGID_X_EN: 1
; COMPUTE_PGM_RSRC2:TGID_Y_EN: 0
; COMPUTE_PGM_RSRC2:TGID_Z_EN: 0
; COMPUTE_PGM_RSRC2:TIDIG_COMP_CNT: 0
; COMPUTE_PGM_RSRC3_GFX90A:ACCUM_OFFSET: 2
; COMPUTE_PGM_RSRC3_GFX90A:TG_SPLIT: 0
	.section	.text._ZN4vllm42fused_add_rms_norm_static_fp8_quant_kernelIN3c108BFloat16ELi0ENS1_15Float8_e4m3fnuzEEENSt9enable_ifIXooeqT0_Li0Entsr12_typeConvertIT_EE6existsEvE4typeEPT1_PS5_iSA_PKS5_PKffii,"axG",@progbits,_ZN4vllm42fused_add_rms_norm_static_fp8_quant_kernelIN3c108BFloat16ELi0ENS1_15Float8_e4m3fnuzEEENSt9enable_ifIXooeqT0_Li0Entsr12_typeConvertIT_EE6existsEvE4typeEPT1_PS5_iSA_PKS5_PKffii,comdat
	.protected	_ZN4vllm42fused_add_rms_norm_static_fp8_quant_kernelIN3c108BFloat16ELi0ENS1_15Float8_e4m3fnuzEEENSt9enable_ifIXooeqT0_Li0Entsr12_typeConvertIT_EE6existsEvE4typeEPT1_PS5_iSA_PKS5_PKffii ; -- Begin function _ZN4vllm42fused_add_rms_norm_static_fp8_quant_kernelIN3c108BFloat16ELi0ENS1_15Float8_e4m3fnuzEEENSt9enable_ifIXooeqT0_Li0Entsr12_typeConvertIT_EE6existsEvE4typeEPT1_PS5_iSA_PKS5_PKffii
	.globl	_ZN4vllm42fused_add_rms_norm_static_fp8_quant_kernelIN3c108BFloat16ELi0ENS1_15Float8_e4m3fnuzEEENSt9enable_ifIXooeqT0_Li0Entsr12_typeConvertIT_EE6existsEvE4typeEPT1_PS5_iSA_PKS5_PKffii
	.p2align	8
	.type	_ZN4vllm42fused_add_rms_norm_static_fp8_quant_kernelIN3c108BFloat16ELi0ENS1_15Float8_e4m3fnuzEEENSt9enable_ifIXooeqT0_Li0Entsr12_typeConvertIT_EE6existsEvE4typeEPT1_PS5_iSA_PKS5_PKffii,@function
_ZN4vllm42fused_add_rms_norm_static_fp8_quant_kernelIN3c108BFloat16ELi0ENS1_15Float8_e4m3fnuzEEENSt9enable_ifIXooeqT0_Li0Entsr12_typeConvertIT_EE6existsEvE4typeEPT1_PS5_iSA_PKS5_PKffii: ; @_ZN4vllm42fused_add_rms_norm_static_fp8_quant_kernelIN3c108BFloat16ELi0ENS1_15Float8_e4m3fnuzEEENSt9enable_ifIXooeqT0_Li0Entsr12_typeConvertIT_EE6existsEvE4typeEPT1_PS5_iSA_PKS5_PKffii
; %bb.0:
	s_load_dword s20, s[0:1], 0x38
	s_load_dwordx2 s[6:7], s[0:1], 0x18
                                        ; implicit-def: $sgpr16
                                        ; implicit-def: $sgpr3
	s_waitcnt lgkmcnt(0)
	v_cmp_gt_i32_e64 s[4:5], s20, v0
	v_cmp_le_i32_e32 vcc, s20, v0
	s_and_saveexec_b64 s[8:9], vcc
	s_xor_b64 s[8:9], exec, s[8:9]
	s_cbranch_execz .LBB41_2
; %bb.1:
	s_load_dword s3, s[0:1], 0x4c
	s_mov_b32 s16, 0
	s_waitcnt lgkmcnt(0)
	s_and_b32 s3, s3, 0xffff
.LBB41_2:
	s_or_saveexec_b64 s[14:15], s[8:9]
	s_load_dwordx2 s[12:13], s[0:1], 0x0
	s_load_dwordx4 s[8:11], s[0:1], 0x20
	v_mov_b32_e32 v5, s16
	v_mov_b32_e32 v4, s3
	s_mul_i32 s21, s2, s20
	s_xor_b64 exec, exec, s[14:15]
	s_cbranch_execz .LBB41_6
; %bb.3:
	s_load_dword s3, s[0:1], 0x10
	s_load_dword s22, s[0:1], 0x4c
	s_load_dwordx2 s[16:17], s[0:1], 0x8
	s_mov_b64 s[18:19], 0
	v_mov_b32_e32 v3, 0
	s_waitcnt lgkmcnt(0)
	s_mul_i32 s3, s2, s3
	s_and_b32 s2, s22, 0xffff
	s_movk_i32 s22, 0x7fff
	v_mov_b32_e32 v1, 0x7fc0
	v_mov_b32_e32 v5, 0
	;; [unrolled: 1-line block ×3, first 2 shown]
.LBB41_4:                               ; =>This Inner Loop Header: Depth=1
	v_add_u32_e32 v2, s3, v4
	v_lshl_add_u64 v[6:7], v[2:3], 1, s[16:17]
	v_add_u32_e32 v2, s21, v4
	v_lshl_add_u64 v[8:9], v[2:3], 1, s[6:7]
	global_load_ushort v2, v[6:7], off
	global_load_ushort v10, v[8:9], off
	v_add_u32_e32 v4, s2, v4
	v_cmp_le_i32_e32 vcc, s20, v4
	s_or_b64 s[18:19], vcc, s[18:19]
	s_waitcnt vmcnt(1)
	v_lshlrev_b32_e32 v2, 16, v2
	s_waitcnt vmcnt(0)
	v_lshlrev_b32_e32 v6, 16, v10
	v_add_f32_e32 v2, v6, v2
	v_bfe_u32 v6, v2, 16, 1
	v_add3_u32 v6, v2, v6, s22
	v_lshrrev_b32_e32 v6, 16, v6
	v_cmp_o_f32_e32 vcc, v2, v2
	s_nop 1
	v_cndmask_b32_e32 v2, v1, v6, vcc
	v_lshlrev_b32_e32 v6, 16, v2
	v_fmac_f32_e32 v5, v6, v6
	global_store_short v[8:9], v2, off
	s_andn2_b64 exec, exec, s[18:19]
	s_cbranch_execnz .LBB41_4
; %bb.5:
	s_or_b64 exec, exec, s[18:19]
	v_mov_b32_e32 v4, s2
.LBB41_6:
	s_or_b64 exec, exec, s[14:15]
	v_mbcnt_lo_u32_b32 v1, -1, 0
	v_mbcnt_hi_u32_b32 v1, -1, v1
	v_and_b32_e32 v2, 63, v1
	v_cmp_ne_u32_e32 vcc, 63, v2
	v_and_b32_e32 v6, 0x3c0, v0
	v_sub_u32_e64 v6, v4, v6 clamp
	v_addc_co_u32_e32 v3, vcc, 0, v1, vcc
	v_lshlrev_b32_e32 v3, 2, v3
	ds_bpermute_b32 v3, v3, v5
	v_add_u32_e32 v7, 1, v1
	v_cmp_lt_u32_e32 vcc, v7, v6
	v_add_u32_e32 v7, 2, v1
	s_waitcnt lgkmcnt(0)
	v_add_f32_e32 v3, v5, v3
	v_cndmask_b32_e32 v3, v5, v3, vcc
	v_cmp_gt_u32_e32 vcc, 62, v2
	s_nop 1
	v_cndmask_b32_e64 v5, 0, 1, vcc
	v_lshlrev_b32_e32 v5, 1, v5
	v_add_lshl_u32 v5, v5, v1, 2
	ds_bpermute_b32 v5, v5, v3
	v_cmp_lt_u32_e32 vcc, v7, v6
	v_add_u32_e32 v7, 4, v1
	s_waitcnt lgkmcnt(0)
	v_add_f32_e32 v5, v3, v5
	v_cndmask_b32_e32 v3, v3, v5, vcc
	v_cmp_gt_u32_e32 vcc, 60, v2
	s_nop 1
	v_cndmask_b32_e64 v5, 0, 1, vcc
	v_lshlrev_b32_e32 v5, 2, v5
	v_add_lshl_u32 v5, v5, v1, 2
	ds_bpermute_b32 v5, v5, v3
	;; [unrolled: 11-line block ×4, first 2 shown]
	v_cmp_lt_u32_e32 vcc, v7, v6
	s_waitcnt lgkmcnt(0)
	v_add_f32_e32 v5, v3, v5
	v_cndmask_b32_e32 v3, v3, v5, vcc
	v_cmp_gt_u32_e32 vcc, 32, v2
	v_add_u32_e32 v5, 32, v1
	s_nop 0
	v_cndmask_b32_e64 v2, 0, 1, vcc
	v_lshlrev_b32_e32 v2, 5, v2
	v_add_lshl_u32 v2, v2, v1, 2
	ds_bpermute_b32 v2, v2, v3
	v_cmp_lt_u32_e32 vcc, v5, v6
	s_waitcnt lgkmcnt(0)
	v_add_f32_e32 v2, v3, v2
	v_cndmask_b32_e32 v2, v3, v2, vcc
	v_cmp_eq_u32_e32 vcc, 0, v1
	s_and_saveexec_b64 s[2:3], vcc
	s_cbranch_execz .LBB41_8
; %bb.7:
	v_lshrrev_b32_e32 v3, 4, v0
	v_and_b32_e32 v3, 60, v3
	ds_write_b32 v3, v2
.LBB41_8:
	s_or_b64 exec, exec, s[2:3]
	v_cmp_gt_u32_e32 vcc, 16, v0
	s_waitcnt lgkmcnt(0)
	s_barrier
	s_and_saveexec_b64 s[14:15], vcc
	s_cbranch_execz .LBB41_10
; %bb.9:
	v_lshlrev_b32_e32 v2, 2, v1
	ds_read_b32 v2, v2
	v_and_b32_e32 v3, 15, v1
	v_cmp_ne_u32_e32 vcc, 15, v3
	v_add_u32_e32 v6, 63, v4
	v_lshrrev_b32_e32 v6, 6, v6
	v_addc_co_u32_e32 v5, vcc, 0, v1, vcc
	v_lshlrev_b32_e32 v5, 2, v5
	s_waitcnt lgkmcnt(0)
	ds_bpermute_b32 v5, v5, v2
	v_add_u32_e32 v7, 1, v3
	v_cmp_gt_u32_e64 s[2:3], 14, v3
	v_cmp_lt_u32_e32 vcc, v7, v6
	v_add_u32_e32 v8, 2, v3
	v_cndmask_b32_e64 v7, 0, 1, s[2:3]
	s_waitcnt lgkmcnt(0)
	v_add_f32_e32 v5, v2, v5
	v_lshlrev_b32_e32 v7, 1, v7
	v_cndmask_b32_e32 v5, v2, v5, vcc
	v_add_lshl_u32 v7, v7, v1, 2
	ds_bpermute_b32 v7, v7, v5
	v_cmp_lt_u32_e64 s[2:3], v8, v6
	v_add_u32_e32 v8, 4, v3
	s_waitcnt lgkmcnt(0)
	v_add_f32_e32 v7, v5, v7
	v_cndmask_b32_e64 v5, v5, v7, s[2:3]
	v_cmp_gt_u32_e64 s[2:3], 12, v3
	s_nop 1
	v_cndmask_b32_e64 v7, 0, 1, s[2:3]
	v_lshlrev_b32_e32 v7, 2, v7
	v_add_lshl_u32 v7, v7, v1, 2
	ds_bpermute_b32 v7, v7, v5
	v_cmp_lt_u32_e64 s[2:3], v8, v6
	s_waitcnt lgkmcnt(0)
	v_add_f32_e32 v7, v5, v7
	v_cndmask_b32_e64 v5, v5, v7, s[2:3]
	v_cmp_gt_u32_e64 s[2:3], 8, v3
	v_add_u32_e32 v3, 8, v3
	s_nop 0
	v_cndmask_b32_e64 v7, 0, 1, s[2:3]
	v_lshlrev_b32_e32 v7, 3, v7
	v_add_lshl_u32 v1, v7, v1, 2
	ds_bpermute_b32 v1, v1, v5
	v_cmp_lt_u32_e64 s[2:3], v3, v6
	s_waitcnt lgkmcnt(0)
	v_add_f32_e32 v1, v5, v1
	v_cndmask_b32_e64 v1, v5, v1, s[2:3]
	v_cndmask_b32_e32 v2, v2, v1, vcc
.LBB41_10:
	s_or_b64 exec, exec, s[14:15]
	v_cmp_eq_u32_e32 vcc, 0, v0
	s_and_saveexec_b64 s[2:3], vcc
	s_cbranch_execz .LBB41_12
; %bb.11:
	v_cvt_f32_i32_e32 v1, s20
	s_load_dword s14, s[0:1], 0x30
	v_div_scale_f32 v3, s[0:1], v1, v1, v2
	v_rcp_f32_e32 v5, v3
	v_div_scale_f32 v6, vcc, v2, v1, v2
	s_mov_b32 s0, 0x800000
	v_fma_f32 v7, -v3, v5, 1.0
	v_fmac_f32_e32 v5, v7, v5
	v_mul_f32_e32 v7, v6, v5
	v_fma_f32 v8, -v3, v7, v6
	v_fmac_f32_e32 v7, v8, v5
	v_fma_f32 v3, -v3, v7, v6
	v_div_fmas_f32 v3, v3, v5, v7
	v_div_fixup_f32 v1, v3, v1, v2
	s_waitcnt lgkmcnt(0)
	v_add_f32_e32 v1, s14, v1
	v_mul_f32_e32 v2, 0x4b800000, v1
	v_cmp_gt_f32_e32 vcc, s0, v1
	s_nop 1
	v_cndmask_b32_e32 v1, v1, v2, vcc
	v_rsq_f32_e32 v1, v1
	s_nop 0
	v_mul_f32_e32 v2, 0x45800000, v1
	v_cndmask_b32_e32 v1, v1, v2, vcc
	v_mov_b32_e32 v2, 0
	ds_write_b32 v2, v1 offset:64
.LBB41_12:
	s_or_b64 exec, exec, s[2:3]
	s_waitcnt lgkmcnt(0)
	s_barrier
	s_and_saveexec_b64 s[0:1], s[4:5]
	s_cbranch_execz .LBB41_15
; %bb.13:
	s_load_dword s4, s[10:11], 0x0
	v_mov_b32_e32 v3, 0
	ds_read_b32 v5, v3 offset:64
	s_mov_b64 s[0:1], 0
	s_waitcnt lgkmcnt(0)
	v_div_scale_f32 v1, s[2:3], s4, s4, 1.0
	v_rcp_f32_e32 v2, v1
	v_div_scale_f32 v6, vcc, 1.0, s4, 1.0
	s_movk_i32 s2, 0x7fff
	v_fma_f32 v7, -v1, v2, 1.0
	v_fmac_f32_e32 v2, v7, v2
	v_mul_f32_e32 v7, v6, v2
	v_fma_f32 v8, -v1, v7, v6
	v_fmac_f32_e32 v7, v8, v2
	v_fma_f32 v1, -v1, v7, v6
	v_div_fmas_f32 v1, v1, v2, v7
	v_div_fixup_f32 v6, v1, s4, 1.0
	v_mov_b32_e32 v7, 0x7fc00000
	s_mov_b32 s3, 0x7f800000
	s_mov_b32 s4, 0x43700000
	v_mov_b32_e32 v8, 0xc3700000
.LBB41_14:                              ; =>This Inner Loop Header: Depth=1
	v_add_u32_e32 v2, s21, v0
	v_ashrrev_i32_e32 v1, 31, v0
	v_lshl_add_u64 v[10:11], v[2:3], 1, s[6:7]
	v_lshl_add_u64 v[12:13], v[0:1], 1, s[8:9]
	global_load_ushort v1, v[10:11], off
	global_load_ushort v9, v[12:13], off
	v_mov_b32_e32 v10, v3
	v_add_u32_e32 v0, v0, v4
	s_waitcnt vmcnt(1)
	v_lshlrev_b32_e32 v1, 16, v1
	v_mul_f32_e32 v1, v5, v1
	v_bfe_u32 v11, v1, 16, 1
	v_add3_u32 v11, v1, v11, s2
	v_and_b32_e32 v11, 0xffff0000, v11
	v_cmp_o_f32_e32 vcc, v1, v1
	s_waitcnt vmcnt(0)
	v_lshlrev_b32_e32 v9, 16, v9
	v_cndmask_b32_e32 v1, v7, v11, vcc
	v_mul_f32_e32 v1, v1, v9
	v_bfe_u32 v9, v1, 16, 1
	v_add3_u32 v9, v1, v9, s2
	v_and_b32_e32 v9, 0xffff0000, v9
	v_cmp_o_f32_e32 vcc, v1, v1
	s_nop 1
	v_cndmask_b32_e32 v1, v7, v9, vcc
	v_mul_f32_e32 v1, v6, v1
	v_min_f32_e32 v1, 0x43600000, v1
	v_max_f32_e32 v1, 0xc3600000, v1
	v_med3_f32 v9, v1, s4, v8
	v_cmp_nlg_f32_e64 vcc, |v1|, s3
	s_nop 1
	v_cndmask_b32_e32 v1, v9, v1, vcc
	v_cvt_pk_fp8_f32 v10, v1, v1
	v_cmp_le_i32_e32 vcc, s20, v0
	s_or_b64 s[0:1], vcc, s[0:1]
	global_store_byte v2, v10, s[12:13]
	s_andn2_b64 exec, exec, s[0:1]
	s_cbranch_execnz .LBB41_14
.LBB41_15:
	s_endpgm
	.section	.rodata,"a",@progbits
	.p2align	6, 0x0
	.amdhsa_kernel _ZN4vllm42fused_add_rms_norm_static_fp8_quant_kernelIN3c108BFloat16ELi0ENS1_15Float8_e4m3fnuzEEENSt9enable_ifIXooeqT0_Li0Entsr12_typeConvertIT_EE6existsEvE4typeEPT1_PS5_iSA_PKS5_PKffii
		.amdhsa_group_segment_fixed_size 68
		.amdhsa_private_segment_fixed_size 0
		.amdhsa_kernarg_size 320
		.amdhsa_user_sgpr_count 2
		.amdhsa_user_sgpr_dispatch_ptr 0
		.amdhsa_user_sgpr_queue_ptr 0
		.amdhsa_user_sgpr_kernarg_segment_ptr 1
		.amdhsa_user_sgpr_dispatch_id 0
		.amdhsa_user_sgpr_kernarg_preload_length 0
		.amdhsa_user_sgpr_kernarg_preload_offset 0
		.amdhsa_user_sgpr_private_segment_size 0
		.amdhsa_uses_dynamic_stack 0
		.amdhsa_enable_private_segment 0
		.amdhsa_system_sgpr_workgroup_id_x 1
		.amdhsa_system_sgpr_workgroup_id_y 0
		.amdhsa_system_sgpr_workgroup_id_z 0
		.amdhsa_system_sgpr_workgroup_info 0
		.amdhsa_system_vgpr_workitem_id 0
		.amdhsa_next_free_vgpr 14
		.amdhsa_next_free_sgpr 23
		.amdhsa_accum_offset 16
		.amdhsa_reserve_vcc 1
		.amdhsa_float_round_mode_32 0
		.amdhsa_float_round_mode_16_64 0
		.amdhsa_float_denorm_mode_32 3
		.amdhsa_float_denorm_mode_16_64 3
		.amdhsa_dx10_clamp 1
		.amdhsa_ieee_mode 1
		.amdhsa_fp16_overflow 0
		.amdhsa_tg_split 0
		.amdhsa_exception_fp_ieee_invalid_op 0
		.amdhsa_exception_fp_denorm_src 0
		.amdhsa_exception_fp_ieee_div_zero 0
		.amdhsa_exception_fp_ieee_overflow 0
		.amdhsa_exception_fp_ieee_underflow 0
		.amdhsa_exception_fp_ieee_inexact 0
		.amdhsa_exception_int_div_zero 0
	.end_amdhsa_kernel
	.section	.text._ZN4vllm42fused_add_rms_norm_static_fp8_quant_kernelIN3c108BFloat16ELi0ENS1_15Float8_e4m3fnuzEEENSt9enable_ifIXooeqT0_Li0Entsr12_typeConvertIT_EE6existsEvE4typeEPT1_PS5_iSA_PKS5_PKffii,"axG",@progbits,_ZN4vllm42fused_add_rms_norm_static_fp8_quant_kernelIN3c108BFloat16ELi0ENS1_15Float8_e4m3fnuzEEENSt9enable_ifIXooeqT0_Li0Entsr12_typeConvertIT_EE6existsEvE4typeEPT1_PS5_iSA_PKS5_PKffii,comdat
.Lfunc_end41:
	.size	_ZN4vllm42fused_add_rms_norm_static_fp8_quant_kernelIN3c108BFloat16ELi0ENS1_15Float8_e4m3fnuzEEENSt9enable_ifIXooeqT0_Li0Entsr12_typeConvertIT_EE6existsEvE4typeEPT1_PS5_iSA_PKS5_PKffii, .Lfunc_end41-_ZN4vllm42fused_add_rms_norm_static_fp8_quant_kernelIN3c108BFloat16ELi0ENS1_15Float8_e4m3fnuzEEENSt9enable_ifIXooeqT0_Li0Entsr12_typeConvertIT_EE6existsEvE4typeEPT1_PS5_iSA_PKS5_PKffii
                                        ; -- End function
	.section	.AMDGPU.csdata,"",@progbits
; Kernel info:
; codeLenInByte = 1540
; NumSgprs: 29
; NumVgprs: 14
; NumAgprs: 0
; TotalNumVgprs: 14
; ScratchSize: 0
; MemoryBound: 0
; FloatMode: 240
; IeeeMode: 1
; LDSByteSize: 68 bytes/workgroup (compile time only)
; SGPRBlocks: 3
; VGPRBlocks: 1
; NumSGPRsForWavesPerEU: 29
; NumVGPRsForWavesPerEU: 14
; AccumOffset: 16
; Occupancy: 8
; WaveLimiterHint : 0
; COMPUTE_PGM_RSRC2:SCRATCH_EN: 0
; COMPUTE_PGM_RSRC2:USER_SGPR: 2
; COMPUTE_PGM_RSRC2:TRAP_HANDLER: 0
; COMPUTE_PGM_RSRC2:TGID_X_EN: 1
; COMPUTE_PGM_RSRC2:TGID_Y_EN: 0
; COMPUTE_PGM_RSRC2:TGID_Z_EN: 0
; COMPUTE_PGM_RSRC2:TIDIG_COMP_CNT: 0
; COMPUTE_PGM_RSRC3_GFX90A:ACCUM_OFFSET: 3
; COMPUTE_PGM_RSRC3_GFX90A:TG_SPLIT: 0
	.text
	.p2alignl 6, 3212836864
	.fill 256, 4, 3212836864
	.type	__hip_cuid_11e506f646a7b1e9,@object ; @__hip_cuid_11e506f646a7b1e9
	.section	.bss,"aw",@nobits
	.globl	__hip_cuid_11e506f646a7b1e9
__hip_cuid_11e506f646a7b1e9:
	.byte	0                               ; 0x0
	.size	__hip_cuid_11e506f646a7b1e9, 1

	.ident	"AMD clang version 19.0.0git (https://github.com/RadeonOpenCompute/llvm-project roc-6.4.0 25133 c7fe45cf4b819c5991fe208aaa96edf142730f1d)"
	.section	".note.GNU-stack","",@progbits
	.addrsig
	.addrsig_sym __hip_cuid_11e506f646a7b1e9
	.amdgpu_metadata
---
amdhsa.kernels:
  - .agpr_count:     0
    .args:
      - .actual_access:  write_only
        .address_space:  global
        .offset:         0
        .size:           8
        .value_kind:     global_buffer
      - .address_space:  global
        .offset:         8
        .size:           8
        .value_kind:     global_buffer
      - .offset:         16
        .size:           4
        .value_kind:     by_value
      - .actual_access:  read_only
        .address_space:  global
        .offset:         24
        .size:           8
        .value_kind:     global_buffer
      - .actual_access:  read_only
        .address_space:  global
        .offset:         32
        .size:           8
        .value_kind:     global_buffer
      - .offset:         40
        .size:           4
        .value_kind:     by_value
      - .offset:         44
        .size:           4
        .value_kind:     by_value
      - .offset:         48
        .size:           4
        .value_kind:     by_value
      - .offset:         56
        .size:           4
        .value_kind:     hidden_block_count_x
      - .offset:         60
        .size:           4
        .value_kind:     hidden_block_count_y
      - .offset:         64
        .size:           4
        .value_kind:     hidden_block_count_z
      - .offset:         68
        .size:           2
        .value_kind:     hidden_group_size_x
      - .offset:         70
        .size:           2
        .value_kind:     hidden_group_size_y
      - .offset:         72
        .size:           2
        .value_kind:     hidden_group_size_z
      - .offset:         74
        .size:           2
        .value_kind:     hidden_remainder_x
      - .offset:         76
        .size:           2
        .value_kind:     hidden_remainder_y
      - .offset:         78
        .size:           2
        .value_kind:     hidden_remainder_z
      - .offset:         96
        .size:           8
        .value_kind:     hidden_global_offset_x
      - .offset:         104
        .size:           8
        .value_kind:     hidden_global_offset_y
      - .offset:         112
        .size:           8
        .value_kind:     hidden_global_offset_z
      - .offset:         120
        .size:           2
        .value_kind:     hidden_grid_dims
    .group_segment_fixed_size: 68
    .kernarg_segment_align: 8
    .kernarg_segment_size: 312
    .language:       OpenCL C
    .language_version:
      - 2
      - 0
    .max_flat_workgroup_size: 1024
    .name:           _ZN4vllm32rms_norm_static_fp8_quant_kernelIfN3c1013Float8_e4m3fnELi16EEEvPT0_PKT_iS7_PKffii
    .private_segment_fixed_size: 0
    .sgpr_count:     28
    .sgpr_spill_count: 0
    .symbol:         _ZN4vllm32rms_norm_static_fp8_quant_kernelIfN3c1013Float8_e4m3fnELi16EEEvPT0_PKT_iS7_PKffii.kd
    .uniform_work_group_size: 1
    .uses_dynamic_stack: false
    .vgpr_count:     42
    .vgpr_spill_count: 0
    .wavefront_size: 64
  - .agpr_count:     0
    .args:
      - .actual_access:  write_only
        .address_space:  global
        .offset:         0
        .size:           8
        .value_kind:     global_buffer
      - .address_space:  global
        .offset:         8
        .size:           8
        .value_kind:     global_buffer
      - .offset:         16
        .size:           4
        .value_kind:     by_value
      - .actual_access:  read_only
        .address_space:  global
        .offset:         24
        .size:           8
        .value_kind:     global_buffer
      - .actual_access:  read_only
        .address_space:  global
        .offset:         32
        .size:           8
        .value_kind:     global_buffer
      - .offset:         40
        .size:           4
        .value_kind:     by_value
      - .offset:         44
        .size:           4
        .value_kind:     by_value
      - .offset:         48
        .size:           4
        .value_kind:     by_value
      - .offset:         56
        .size:           4
        .value_kind:     hidden_block_count_x
      - .offset:         60
        .size:           4
        .value_kind:     hidden_block_count_y
      - .offset:         64
        .size:           4
        .value_kind:     hidden_block_count_z
      - .offset:         68
        .size:           2
        .value_kind:     hidden_group_size_x
      - .offset:         70
        .size:           2
        .value_kind:     hidden_group_size_y
      - .offset:         72
        .size:           2
        .value_kind:     hidden_group_size_z
      - .offset:         74
        .size:           2
        .value_kind:     hidden_remainder_x
      - .offset:         76
        .size:           2
        .value_kind:     hidden_remainder_y
      - .offset:         78
        .size:           2
        .value_kind:     hidden_remainder_z
      - .offset:         96
        .size:           8
        .value_kind:     hidden_global_offset_x
      - .offset:         104
        .size:           8
        .value_kind:     hidden_global_offset_y
      - .offset:         112
        .size:           8
        .value_kind:     hidden_global_offset_z
      - .offset:         120
        .size:           2
        .value_kind:     hidden_grid_dims
    .group_segment_fixed_size: 68
    .kernarg_segment_align: 8
    .kernarg_segment_size: 312
    .language:       OpenCL C
    .language_version:
      - 2
      - 0
    .max_flat_workgroup_size: 1024
    .name:           _ZN4vllm32rms_norm_static_fp8_quant_kernelIfN3c1013Float8_e4m3fnELi8EEEvPT0_PKT_iS7_PKffii
    .private_segment_fixed_size: 0
    .sgpr_count:     28
    .sgpr_spill_count: 0
    .symbol:         _ZN4vllm32rms_norm_static_fp8_quant_kernelIfN3c1013Float8_e4m3fnELi8EEEvPT0_PKT_iS7_PKffii.kd
    .uniform_work_group_size: 1
    .uses_dynamic_stack: false
    .vgpr_count:     26
    .vgpr_spill_count: 0
    .wavefront_size: 64
  - .agpr_count:     0
    .args:
      - .actual_access:  write_only
        .address_space:  global
        .offset:         0
        .size:           8
        .value_kind:     global_buffer
      - .address_space:  global
        .offset:         8
        .size:           8
        .value_kind:     global_buffer
      - .offset:         16
        .size:           4
        .value_kind:     by_value
      - .actual_access:  read_only
        .address_space:  global
        .offset:         24
        .size:           8
        .value_kind:     global_buffer
      - .actual_access:  read_only
        .address_space:  global
        .offset:         32
        .size:           8
        .value_kind:     global_buffer
      - .offset:         40
        .size:           4
        .value_kind:     by_value
      - .offset:         44
        .size:           4
        .value_kind:     by_value
      - .offset:         48
        .size:           4
        .value_kind:     by_value
      - .offset:         56
        .size:           4
        .value_kind:     hidden_block_count_x
      - .offset:         60
        .size:           4
        .value_kind:     hidden_block_count_y
      - .offset:         64
        .size:           4
        .value_kind:     hidden_block_count_z
      - .offset:         68
        .size:           2
        .value_kind:     hidden_group_size_x
      - .offset:         70
        .size:           2
        .value_kind:     hidden_group_size_y
      - .offset:         72
        .size:           2
        .value_kind:     hidden_group_size_z
      - .offset:         74
        .size:           2
        .value_kind:     hidden_remainder_x
      - .offset:         76
        .size:           2
        .value_kind:     hidden_remainder_y
      - .offset:         78
        .size:           2
        .value_kind:     hidden_remainder_z
      - .offset:         96
        .size:           8
        .value_kind:     hidden_global_offset_x
      - .offset:         104
        .size:           8
        .value_kind:     hidden_global_offset_y
      - .offset:         112
        .size:           8
        .value_kind:     hidden_global_offset_z
      - .offset:         120
        .size:           2
        .value_kind:     hidden_grid_dims
    .group_segment_fixed_size: 68
    .kernarg_segment_align: 8
    .kernarg_segment_size: 312
    .language:       OpenCL C
    .language_version:
      - 2
      - 0
    .max_flat_workgroup_size: 1024
    .name:           _ZN4vllm32rms_norm_static_fp8_quant_kernelIfN3c1013Float8_e4m3fnELi4EEEvPT0_PKT_iS7_PKffii
    .private_segment_fixed_size: 0
    .sgpr_count:     28
    .sgpr_spill_count: 0
    .symbol:         _ZN4vllm32rms_norm_static_fp8_quant_kernelIfN3c1013Float8_e4m3fnELi4EEEvPT0_PKT_iS7_PKffii.kd
    .uniform_work_group_size: 1
    .uses_dynamic_stack: false
    .vgpr_count:     16
    .vgpr_spill_count: 0
    .wavefront_size: 64
  - .agpr_count:     0
    .args:
      - .actual_access:  write_only
        .address_space:  global
        .offset:         0
        .size:           8
        .value_kind:     global_buffer
      - .address_space:  global
        .offset:         8
        .size:           8
        .value_kind:     global_buffer
      - .offset:         16
        .size:           4
        .value_kind:     by_value
      - .actual_access:  read_only
        .address_space:  global
        .offset:         24
        .size:           8
        .value_kind:     global_buffer
      - .actual_access:  read_only
        .address_space:  global
        .offset:         32
        .size:           8
        .value_kind:     global_buffer
      - .offset:         40
        .size:           4
        .value_kind:     by_value
      - .offset:         44
        .size:           4
        .value_kind:     by_value
      - .offset:         48
        .size:           4
        .value_kind:     by_value
      - .offset:         56
        .size:           4
        .value_kind:     hidden_block_count_x
      - .offset:         60
        .size:           4
        .value_kind:     hidden_block_count_y
      - .offset:         64
        .size:           4
        .value_kind:     hidden_block_count_z
      - .offset:         68
        .size:           2
        .value_kind:     hidden_group_size_x
      - .offset:         70
        .size:           2
        .value_kind:     hidden_group_size_y
      - .offset:         72
        .size:           2
        .value_kind:     hidden_group_size_z
      - .offset:         74
        .size:           2
        .value_kind:     hidden_remainder_x
      - .offset:         76
        .size:           2
        .value_kind:     hidden_remainder_y
      - .offset:         78
        .size:           2
        .value_kind:     hidden_remainder_z
      - .offset:         96
        .size:           8
        .value_kind:     hidden_global_offset_x
      - .offset:         104
        .size:           8
        .value_kind:     hidden_global_offset_y
      - .offset:         112
        .size:           8
        .value_kind:     hidden_global_offset_z
      - .offset:         120
        .size:           2
        .value_kind:     hidden_grid_dims
    .group_segment_fixed_size: 68
    .kernarg_segment_align: 8
    .kernarg_segment_size: 312
    .language:       OpenCL C
    .language_version:
      - 2
      - 0
    .max_flat_workgroup_size: 1024
    .name:           _ZN4vllm32rms_norm_static_fp8_quant_kernelIfN3c1013Float8_e4m3fnELi2EEEvPT0_PKT_iS7_PKffii
    .private_segment_fixed_size: 0
    .sgpr_count:     28
    .sgpr_spill_count: 0
    .symbol:         _ZN4vllm32rms_norm_static_fp8_quant_kernelIfN3c1013Float8_e4m3fnELi2EEEvPT0_PKT_iS7_PKffii.kd
    .uniform_work_group_size: 1
    .uses_dynamic_stack: false
    .vgpr_count:     12
    .vgpr_spill_count: 0
    .wavefront_size: 64
  - .agpr_count:     0
    .args:
      - .actual_access:  write_only
        .address_space:  global
        .offset:         0
        .size:           8
        .value_kind:     global_buffer
      - .address_space:  global
        .offset:         8
        .size:           8
        .value_kind:     global_buffer
      - .offset:         16
        .size:           4
        .value_kind:     by_value
      - .actual_access:  read_only
        .address_space:  global
        .offset:         24
        .size:           8
        .value_kind:     global_buffer
      - .actual_access:  read_only
        .address_space:  global
        .offset:         32
        .size:           8
        .value_kind:     global_buffer
      - .offset:         40
        .size:           4
        .value_kind:     by_value
      - .offset:         44
        .size:           4
        .value_kind:     by_value
      - .offset:         48
        .size:           4
        .value_kind:     by_value
      - .offset:         56
        .size:           4
        .value_kind:     hidden_block_count_x
      - .offset:         60
        .size:           4
        .value_kind:     hidden_block_count_y
      - .offset:         64
        .size:           4
        .value_kind:     hidden_block_count_z
      - .offset:         68
        .size:           2
        .value_kind:     hidden_group_size_x
      - .offset:         70
        .size:           2
        .value_kind:     hidden_group_size_y
      - .offset:         72
        .size:           2
        .value_kind:     hidden_group_size_z
      - .offset:         74
        .size:           2
        .value_kind:     hidden_remainder_x
      - .offset:         76
        .size:           2
        .value_kind:     hidden_remainder_y
      - .offset:         78
        .size:           2
        .value_kind:     hidden_remainder_z
      - .offset:         96
        .size:           8
        .value_kind:     hidden_global_offset_x
      - .offset:         104
        .size:           8
        .value_kind:     hidden_global_offset_y
      - .offset:         112
        .size:           8
        .value_kind:     hidden_global_offset_z
      - .offset:         120
        .size:           2
        .value_kind:     hidden_grid_dims
    .group_segment_fixed_size: 68
    .kernarg_segment_align: 8
    .kernarg_segment_size: 312
    .language:       OpenCL C
    .language_version:
      - 2
      - 0
    .max_flat_workgroup_size: 1024
    .name:           _ZN4vllm32rms_norm_static_fp8_quant_kernelIfN3c1013Float8_e4m3fnELi1EEEvPT0_PKT_iS7_PKffii
    .private_segment_fixed_size: 0
    .sgpr_count:     26
    .sgpr_spill_count: 0
    .symbol:         _ZN4vllm32rms_norm_static_fp8_quant_kernelIfN3c1013Float8_e4m3fnELi1EEEvPT0_PKT_iS7_PKffii.kd
    .uniform_work_group_size: 1
    .uses_dynamic_stack: false
    .vgpr_count:     8
    .vgpr_spill_count: 0
    .wavefront_size: 64
  - .agpr_count:     0
    .args:
      - .actual_access:  write_only
        .address_space:  global
        .offset:         0
        .size:           8
        .value_kind:     global_buffer
      - .address_space:  global
        .offset:         8
        .size:           8
        .value_kind:     global_buffer
      - .offset:         16
        .size:           4
        .value_kind:     by_value
      - .actual_access:  read_only
        .address_space:  global
        .offset:         24
        .size:           8
        .value_kind:     global_buffer
      - .actual_access:  read_only
        .address_space:  global
        .offset:         32
        .size:           8
        .value_kind:     global_buffer
      - .offset:         40
        .size:           4
        .value_kind:     by_value
      - .offset:         44
        .size:           4
        .value_kind:     by_value
      - .offset:         48
        .size:           4
        .value_kind:     by_value
      - .offset:         56
        .size:           4
        .value_kind:     hidden_block_count_x
      - .offset:         60
        .size:           4
        .value_kind:     hidden_block_count_y
      - .offset:         64
        .size:           4
        .value_kind:     hidden_block_count_z
      - .offset:         68
        .size:           2
        .value_kind:     hidden_group_size_x
      - .offset:         70
        .size:           2
        .value_kind:     hidden_group_size_y
      - .offset:         72
        .size:           2
        .value_kind:     hidden_group_size_z
      - .offset:         74
        .size:           2
        .value_kind:     hidden_remainder_x
      - .offset:         76
        .size:           2
        .value_kind:     hidden_remainder_y
      - .offset:         78
        .size:           2
        .value_kind:     hidden_remainder_z
      - .offset:         96
        .size:           8
        .value_kind:     hidden_global_offset_x
      - .offset:         104
        .size:           8
        .value_kind:     hidden_global_offset_y
      - .offset:         112
        .size:           8
        .value_kind:     hidden_global_offset_z
      - .offset:         120
        .size:           2
        .value_kind:     hidden_grid_dims
    .group_segment_fixed_size: 68
    .kernarg_segment_align: 8
    .kernarg_segment_size: 312
    .language:       OpenCL C
    .language_version:
      - 2
      - 0
    .max_flat_workgroup_size: 1024
    .name:           _ZN4vllm32rms_norm_static_fp8_quant_kernelIfN3c1015Float8_e4m3fnuzELi16EEEvPT0_PKT_iS7_PKffii
    .private_segment_fixed_size: 0
    .sgpr_count:     30
    .sgpr_spill_count: 0
    .symbol:         _ZN4vllm32rms_norm_static_fp8_quant_kernelIfN3c1015Float8_e4m3fnuzELi16EEEvPT0_PKT_iS7_PKffii.kd
    .uniform_work_group_size: 1
    .uses_dynamic_stack: false
    .vgpr_count:     62
    .vgpr_spill_count: 0
    .wavefront_size: 64
  - .agpr_count:     0
    .args:
      - .actual_access:  write_only
        .address_space:  global
        .offset:         0
        .size:           8
        .value_kind:     global_buffer
      - .address_space:  global
        .offset:         8
        .size:           8
        .value_kind:     global_buffer
      - .offset:         16
        .size:           4
        .value_kind:     by_value
      - .actual_access:  read_only
        .address_space:  global
        .offset:         24
        .size:           8
        .value_kind:     global_buffer
      - .actual_access:  read_only
        .address_space:  global
        .offset:         32
        .size:           8
        .value_kind:     global_buffer
      - .offset:         40
        .size:           4
        .value_kind:     by_value
      - .offset:         44
        .size:           4
        .value_kind:     by_value
      - .offset:         48
        .size:           4
        .value_kind:     by_value
      - .offset:         56
        .size:           4
        .value_kind:     hidden_block_count_x
      - .offset:         60
        .size:           4
        .value_kind:     hidden_block_count_y
      - .offset:         64
        .size:           4
        .value_kind:     hidden_block_count_z
      - .offset:         68
        .size:           2
        .value_kind:     hidden_group_size_x
      - .offset:         70
        .size:           2
        .value_kind:     hidden_group_size_y
      - .offset:         72
        .size:           2
        .value_kind:     hidden_group_size_z
      - .offset:         74
        .size:           2
        .value_kind:     hidden_remainder_x
      - .offset:         76
        .size:           2
        .value_kind:     hidden_remainder_y
      - .offset:         78
        .size:           2
        .value_kind:     hidden_remainder_z
      - .offset:         96
        .size:           8
        .value_kind:     hidden_global_offset_x
      - .offset:         104
        .size:           8
        .value_kind:     hidden_global_offset_y
      - .offset:         112
        .size:           8
        .value_kind:     hidden_global_offset_z
      - .offset:         120
        .size:           2
        .value_kind:     hidden_grid_dims
    .group_segment_fixed_size: 68
    .kernarg_segment_align: 8
    .kernarg_segment_size: 312
    .language:       OpenCL C
    .language_version:
      - 2
      - 0
    .max_flat_workgroup_size: 1024
    .name:           _ZN4vllm32rms_norm_static_fp8_quant_kernelIfN3c1015Float8_e4m3fnuzELi8EEEvPT0_PKT_iS7_PKffii
    .private_segment_fixed_size: 0
    .sgpr_count:     34
    .sgpr_spill_count: 0
    .symbol:         _ZN4vllm32rms_norm_static_fp8_quant_kernelIfN3c1015Float8_e4m3fnuzELi8EEEvPT0_PKT_iS7_PKffii.kd
    .uniform_work_group_size: 1
    .uses_dynamic_stack: false
    .vgpr_count:     40
    .vgpr_spill_count: 0
    .wavefront_size: 64
  - .agpr_count:     0
    .args:
      - .actual_access:  write_only
        .address_space:  global
        .offset:         0
        .size:           8
        .value_kind:     global_buffer
      - .address_space:  global
        .offset:         8
        .size:           8
        .value_kind:     global_buffer
      - .offset:         16
        .size:           4
        .value_kind:     by_value
      - .actual_access:  read_only
        .address_space:  global
        .offset:         24
        .size:           8
        .value_kind:     global_buffer
      - .actual_access:  read_only
        .address_space:  global
        .offset:         32
        .size:           8
        .value_kind:     global_buffer
      - .offset:         40
        .size:           4
        .value_kind:     by_value
      - .offset:         44
        .size:           4
        .value_kind:     by_value
      - .offset:         48
        .size:           4
        .value_kind:     by_value
      - .offset:         56
        .size:           4
        .value_kind:     hidden_block_count_x
      - .offset:         60
        .size:           4
        .value_kind:     hidden_block_count_y
      - .offset:         64
        .size:           4
        .value_kind:     hidden_block_count_z
      - .offset:         68
        .size:           2
        .value_kind:     hidden_group_size_x
      - .offset:         70
        .size:           2
        .value_kind:     hidden_group_size_y
      - .offset:         72
        .size:           2
        .value_kind:     hidden_group_size_z
      - .offset:         74
        .size:           2
        .value_kind:     hidden_remainder_x
      - .offset:         76
        .size:           2
        .value_kind:     hidden_remainder_y
      - .offset:         78
        .size:           2
        .value_kind:     hidden_remainder_z
      - .offset:         96
        .size:           8
        .value_kind:     hidden_global_offset_x
      - .offset:         104
        .size:           8
        .value_kind:     hidden_global_offset_y
      - .offset:         112
        .size:           8
        .value_kind:     hidden_global_offset_z
      - .offset:         120
        .size:           2
        .value_kind:     hidden_grid_dims
    .group_segment_fixed_size: 68
    .kernarg_segment_align: 8
    .kernarg_segment_size: 312
    .language:       OpenCL C
    .language_version:
      - 2
      - 0
    .max_flat_workgroup_size: 1024
    .name:           _ZN4vllm32rms_norm_static_fp8_quant_kernelIfN3c1015Float8_e4m3fnuzELi4EEEvPT0_PKT_iS7_PKffii
    .private_segment_fixed_size: 0
    .sgpr_count:     28
    .sgpr_spill_count: 0
    .symbol:         _ZN4vllm32rms_norm_static_fp8_quant_kernelIfN3c1015Float8_e4m3fnuzELi4EEEvPT0_PKT_iS7_PKffii.kd
    .uniform_work_group_size: 1
    .uses_dynamic_stack: false
    .vgpr_count:     22
    .vgpr_spill_count: 0
    .wavefront_size: 64
  - .agpr_count:     0
    .args:
      - .actual_access:  write_only
        .address_space:  global
        .offset:         0
        .size:           8
        .value_kind:     global_buffer
      - .address_space:  global
        .offset:         8
        .size:           8
        .value_kind:     global_buffer
      - .offset:         16
        .size:           4
        .value_kind:     by_value
      - .actual_access:  read_only
        .address_space:  global
        .offset:         24
        .size:           8
        .value_kind:     global_buffer
      - .actual_access:  read_only
        .address_space:  global
        .offset:         32
        .size:           8
        .value_kind:     global_buffer
      - .offset:         40
        .size:           4
        .value_kind:     by_value
      - .offset:         44
        .size:           4
        .value_kind:     by_value
      - .offset:         48
        .size:           4
        .value_kind:     by_value
      - .offset:         56
        .size:           4
        .value_kind:     hidden_block_count_x
      - .offset:         60
        .size:           4
        .value_kind:     hidden_block_count_y
      - .offset:         64
        .size:           4
        .value_kind:     hidden_block_count_z
      - .offset:         68
        .size:           2
        .value_kind:     hidden_group_size_x
      - .offset:         70
        .size:           2
        .value_kind:     hidden_group_size_y
      - .offset:         72
        .size:           2
        .value_kind:     hidden_group_size_z
      - .offset:         74
        .size:           2
        .value_kind:     hidden_remainder_x
      - .offset:         76
        .size:           2
        .value_kind:     hidden_remainder_y
      - .offset:         78
        .size:           2
        .value_kind:     hidden_remainder_z
      - .offset:         96
        .size:           8
        .value_kind:     hidden_global_offset_x
      - .offset:         104
        .size:           8
        .value_kind:     hidden_global_offset_y
      - .offset:         112
        .size:           8
        .value_kind:     hidden_global_offset_z
      - .offset:         120
        .size:           2
        .value_kind:     hidden_grid_dims
    .group_segment_fixed_size: 68
    .kernarg_segment_align: 8
    .kernarg_segment_size: 312
    .language:       OpenCL C
    .language_version:
      - 2
      - 0
    .max_flat_workgroup_size: 1024
    .name:           _ZN4vllm32rms_norm_static_fp8_quant_kernelIfN3c1015Float8_e4m3fnuzELi2EEEvPT0_PKT_iS7_PKffii
    .private_segment_fixed_size: 0
    .sgpr_count:     28
    .sgpr_spill_count: 0
    .symbol:         _ZN4vllm32rms_norm_static_fp8_quant_kernelIfN3c1015Float8_e4m3fnuzELi2EEEvPT0_PKT_iS7_PKffii.kd
    .uniform_work_group_size: 1
    .uses_dynamic_stack: false
    .vgpr_count:     16
    .vgpr_spill_count: 0
    .wavefront_size: 64
  - .agpr_count:     0
    .args:
      - .actual_access:  write_only
        .address_space:  global
        .offset:         0
        .size:           8
        .value_kind:     global_buffer
      - .address_space:  global
        .offset:         8
        .size:           8
        .value_kind:     global_buffer
      - .offset:         16
        .size:           4
        .value_kind:     by_value
      - .actual_access:  read_only
        .address_space:  global
        .offset:         24
        .size:           8
        .value_kind:     global_buffer
      - .actual_access:  read_only
        .address_space:  global
        .offset:         32
        .size:           8
        .value_kind:     global_buffer
      - .offset:         40
        .size:           4
        .value_kind:     by_value
      - .offset:         44
        .size:           4
        .value_kind:     by_value
      - .offset:         48
        .size:           4
        .value_kind:     by_value
      - .offset:         56
        .size:           4
        .value_kind:     hidden_block_count_x
      - .offset:         60
        .size:           4
        .value_kind:     hidden_block_count_y
      - .offset:         64
        .size:           4
        .value_kind:     hidden_block_count_z
      - .offset:         68
        .size:           2
        .value_kind:     hidden_group_size_x
      - .offset:         70
        .size:           2
        .value_kind:     hidden_group_size_y
      - .offset:         72
        .size:           2
        .value_kind:     hidden_group_size_z
      - .offset:         74
        .size:           2
        .value_kind:     hidden_remainder_x
      - .offset:         76
        .size:           2
        .value_kind:     hidden_remainder_y
      - .offset:         78
        .size:           2
        .value_kind:     hidden_remainder_z
      - .offset:         96
        .size:           8
        .value_kind:     hidden_global_offset_x
      - .offset:         104
        .size:           8
        .value_kind:     hidden_global_offset_y
      - .offset:         112
        .size:           8
        .value_kind:     hidden_global_offset_z
      - .offset:         120
        .size:           2
        .value_kind:     hidden_grid_dims
    .group_segment_fixed_size: 68
    .kernarg_segment_align: 8
    .kernarg_segment_size: 312
    .language:       OpenCL C
    .language_version:
      - 2
      - 0
    .max_flat_workgroup_size: 1024
    .name:           _ZN4vllm32rms_norm_static_fp8_quant_kernelIfN3c1015Float8_e4m3fnuzELi1EEEvPT0_PKT_iS7_PKffii
    .private_segment_fixed_size: 0
    .sgpr_count:     25
    .sgpr_spill_count: 0
    .symbol:         _ZN4vllm32rms_norm_static_fp8_quant_kernelIfN3c1015Float8_e4m3fnuzELi1EEEvPT0_PKT_iS7_PKffii.kd
    .uniform_work_group_size: 1
    .uses_dynamic_stack: false
    .vgpr_count:     10
    .vgpr_spill_count: 0
    .wavefront_size: 64
  - .agpr_count:     0
    .args:
      - .actual_access:  write_only
        .address_space:  global
        .offset:         0
        .size:           8
        .value_kind:     global_buffer
      - .address_space:  global
        .offset:         8
        .size:           8
        .value_kind:     global_buffer
      - .offset:         16
        .size:           4
        .value_kind:     by_value
      - .actual_access:  read_only
        .address_space:  global
        .offset:         24
        .size:           8
        .value_kind:     global_buffer
      - .actual_access:  read_only
        .address_space:  global
        .offset:         32
        .size:           8
        .value_kind:     global_buffer
      - .offset:         40
        .size:           4
        .value_kind:     by_value
      - .offset:         44
        .size:           4
        .value_kind:     by_value
      - .offset:         48
        .size:           4
        .value_kind:     by_value
      - .offset:         56
        .size:           4
        .value_kind:     hidden_block_count_x
      - .offset:         60
        .size:           4
        .value_kind:     hidden_block_count_y
      - .offset:         64
        .size:           4
        .value_kind:     hidden_block_count_z
      - .offset:         68
        .size:           2
        .value_kind:     hidden_group_size_x
      - .offset:         70
        .size:           2
        .value_kind:     hidden_group_size_y
      - .offset:         72
        .size:           2
        .value_kind:     hidden_group_size_z
      - .offset:         74
        .size:           2
        .value_kind:     hidden_remainder_x
      - .offset:         76
        .size:           2
        .value_kind:     hidden_remainder_y
      - .offset:         78
        .size:           2
        .value_kind:     hidden_remainder_z
      - .offset:         96
        .size:           8
        .value_kind:     hidden_global_offset_x
      - .offset:         104
        .size:           8
        .value_kind:     hidden_global_offset_y
      - .offset:         112
        .size:           8
        .value_kind:     hidden_global_offset_z
      - .offset:         120
        .size:           2
        .value_kind:     hidden_grid_dims
    .group_segment_fixed_size: 68
    .kernarg_segment_align: 8
    .kernarg_segment_size: 312
    .language:       OpenCL C
    .language_version:
      - 2
      - 0
    .max_flat_workgroup_size: 1024
    .name:           _ZN4vllm32rms_norm_static_fp8_quant_kernelIN3c104HalfENS1_13Float8_e4m3fnELi16EEEvPT0_PKT_iS8_PKffii
    .private_segment_fixed_size: 0
    .sgpr_count:     28
    .sgpr_spill_count: 0
    .symbol:         _ZN4vllm32rms_norm_static_fp8_quant_kernelIN3c104HalfENS1_13Float8_e4m3fnELi16EEEvPT0_PKT_iS8_PKffii.kd
    .uniform_work_group_size: 1
    .uses_dynamic_stack: false
    .vgpr_count:     26
    .vgpr_spill_count: 0
    .wavefront_size: 64
  - .agpr_count:     0
    .args:
      - .actual_access:  write_only
        .address_space:  global
        .offset:         0
        .size:           8
        .value_kind:     global_buffer
      - .address_space:  global
        .offset:         8
        .size:           8
        .value_kind:     global_buffer
      - .offset:         16
        .size:           4
        .value_kind:     by_value
      - .actual_access:  read_only
        .address_space:  global
        .offset:         24
        .size:           8
        .value_kind:     global_buffer
      - .actual_access:  read_only
        .address_space:  global
        .offset:         32
        .size:           8
        .value_kind:     global_buffer
      - .offset:         40
        .size:           4
        .value_kind:     by_value
      - .offset:         44
        .size:           4
        .value_kind:     by_value
      - .offset:         48
        .size:           4
        .value_kind:     by_value
      - .offset:         56
        .size:           4
        .value_kind:     hidden_block_count_x
      - .offset:         60
        .size:           4
        .value_kind:     hidden_block_count_y
      - .offset:         64
        .size:           4
        .value_kind:     hidden_block_count_z
      - .offset:         68
        .size:           2
        .value_kind:     hidden_group_size_x
      - .offset:         70
        .size:           2
        .value_kind:     hidden_group_size_y
      - .offset:         72
        .size:           2
        .value_kind:     hidden_group_size_z
      - .offset:         74
        .size:           2
        .value_kind:     hidden_remainder_x
      - .offset:         76
        .size:           2
        .value_kind:     hidden_remainder_y
      - .offset:         78
        .size:           2
        .value_kind:     hidden_remainder_z
      - .offset:         96
        .size:           8
        .value_kind:     hidden_global_offset_x
      - .offset:         104
        .size:           8
        .value_kind:     hidden_global_offset_y
      - .offset:         112
        .size:           8
        .value_kind:     hidden_global_offset_z
      - .offset:         120
        .size:           2
        .value_kind:     hidden_grid_dims
    .group_segment_fixed_size: 68
    .kernarg_segment_align: 8
    .kernarg_segment_size: 312
    .language:       OpenCL C
    .language_version:
      - 2
      - 0
    .max_flat_workgroup_size: 1024
    .name:           _ZN4vllm32rms_norm_static_fp8_quant_kernelIN3c104HalfENS1_13Float8_e4m3fnELi8EEEvPT0_PKT_iS8_PKffii
    .private_segment_fixed_size: 0
    .sgpr_count:     28
    .sgpr_spill_count: 0
    .symbol:         _ZN4vllm32rms_norm_static_fp8_quant_kernelIN3c104HalfENS1_13Float8_e4m3fnELi8EEEvPT0_PKT_iS8_PKffii.kd
    .uniform_work_group_size: 1
    .uses_dynamic_stack: false
    .vgpr_count:     18
    .vgpr_spill_count: 0
    .wavefront_size: 64
  - .agpr_count:     0
    .args:
      - .actual_access:  write_only
        .address_space:  global
        .offset:         0
        .size:           8
        .value_kind:     global_buffer
      - .address_space:  global
        .offset:         8
        .size:           8
        .value_kind:     global_buffer
      - .offset:         16
        .size:           4
        .value_kind:     by_value
      - .actual_access:  read_only
        .address_space:  global
        .offset:         24
        .size:           8
        .value_kind:     global_buffer
      - .actual_access:  read_only
        .address_space:  global
        .offset:         32
        .size:           8
        .value_kind:     global_buffer
      - .offset:         40
        .size:           4
        .value_kind:     by_value
      - .offset:         44
        .size:           4
        .value_kind:     by_value
      - .offset:         48
        .size:           4
        .value_kind:     by_value
      - .offset:         56
        .size:           4
        .value_kind:     hidden_block_count_x
      - .offset:         60
        .size:           4
        .value_kind:     hidden_block_count_y
      - .offset:         64
        .size:           4
        .value_kind:     hidden_block_count_z
      - .offset:         68
        .size:           2
        .value_kind:     hidden_group_size_x
      - .offset:         70
        .size:           2
        .value_kind:     hidden_group_size_y
      - .offset:         72
        .size:           2
        .value_kind:     hidden_group_size_z
      - .offset:         74
        .size:           2
        .value_kind:     hidden_remainder_x
      - .offset:         76
        .size:           2
        .value_kind:     hidden_remainder_y
      - .offset:         78
        .size:           2
        .value_kind:     hidden_remainder_z
      - .offset:         96
        .size:           8
        .value_kind:     hidden_global_offset_x
      - .offset:         104
        .size:           8
        .value_kind:     hidden_global_offset_y
      - .offset:         112
        .size:           8
        .value_kind:     hidden_global_offset_z
      - .offset:         120
        .size:           2
        .value_kind:     hidden_grid_dims
    .group_segment_fixed_size: 68
    .kernarg_segment_align: 8
    .kernarg_segment_size: 312
    .language:       OpenCL C
    .language_version:
      - 2
      - 0
    .max_flat_workgroup_size: 1024
    .name:           _ZN4vllm32rms_norm_static_fp8_quant_kernelIN3c104HalfENS1_13Float8_e4m3fnELi4EEEvPT0_PKT_iS8_PKffii
    .private_segment_fixed_size: 0
    .sgpr_count:     28
    .sgpr_spill_count: 0
    .symbol:         _ZN4vllm32rms_norm_static_fp8_quant_kernelIN3c104HalfENS1_13Float8_e4m3fnELi4EEEvPT0_PKT_iS8_PKffii.kd
    .uniform_work_group_size: 1
    .uses_dynamic_stack: false
    .vgpr_count:     14
    .vgpr_spill_count: 0
    .wavefront_size: 64
  - .agpr_count:     0
    .args:
      - .actual_access:  write_only
        .address_space:  global
        .offset:         0
        .size:           8
        .value_kind:     global_buffer
      - .address_space:  global
        .offset:         8
        .size:           8
        .value_kind:     global_buffer
      - .offset:         16
        .size:           4
        .value_kind:     by_value
      - .actual_access:  read_only
        .address_space:  global
        .offset:         24
        .size:           8
        .value_kind:     global_buffer
      - .actual_access:  read_only
        .address_space:  global
        .offset:         32
        .size:           8
        .value_kind:     global_buffer
      - .offset:         40
        .size:           4
        .value_kind:     by_value
      - .offset:         44
        .size:           4
        .value_kind:     by_value
      - .offset:         48
        .size:           4
        .value_kind:     by_value
      - .offset:         56
        .size:           4
        .value_kind:     hidden_block_count_x
      - .offset:         60
        .size:           4
        .value_kind:     hidden_block_count_y
      - .offset:         64
        .size:           4
        .value_kind:     hidden_block_count_z
      - .offset:         68
        .size:           2
        .value_kind:     hidden_group_size_x
      - .offset:         70
        .size:           2
        .value_kind:     hidden_group_size_y
      - .offset:         72
        .size:           2
        .value_kind:     hidden_group_size_z
      - .offset:         74
        .size:           2
        .value_kind:     hidden_remainder_x
      - .offset:         76
        .size:           2
        .value_kind:     hidden_remainder_y
      - .offset:         78
        .size:           2
        .value_kind:     hidden_remainder_z
      - .offset:         96
        .size:           8
        .value_kind:     hidden_global_offset_x
      - .offset:         104
        .size:           8
        .value_kind:     hidden_global_offset_y
      - .offset:         112
        .size:           8
        .value_kind:     hidden_global_offset_z
      - .offset:         120
        .size:           2
        .value_kind:     hidden_grid_dims
    .group_segment_fixed_size: 68
    .kernarg_segment_align: 8
    .kernarg_segment_size: 312
    .language:       OpenCL C
    .language_version:
      - 2
      - 0
    .max_flat_workgroup_size: 1024
    .name:           _ZN4vllm32rms_norm_static_fp8_quant_kernelIN3c104HalfENS1_13Float8_e4m3fnELi2EEEvPT0_PKT_iS8_PKffii
    .private_segment_fixed_size: 0
    .sgpr_count:     28
    .sgpr_spill_count: 0
    .symbol:         _ZN4vllm32rms_norm_static_fp8_quant_kernelIN3c104HalfENS1_13Float8_e4m3fnELi2EEEvPT0_PKT_iS8_PKffii.kd
    .uniform_work_group_size: 1
    .uses_dynamic_stack: false
    .vgpr_count:     12
    .vgpr_spill_count: 0
    .wavefront_size: 64
  - .agpr_count:     0
    .args:
      - .actual_access:  write_only
        .address_space:  global
        .offset:         0
        .size:           8
        .value_kind:     global_buffer
      - .address_space:  global
        .offset:         8
        .size:           8
        .value_kind:     global_buffer
      - .offset:         16
        .size:           4
        .value_kind:     by_value
      - .actual_access:  read_only
        .address_space:  global
        .offset:         24
        .size:           8
        .value_kind:     global_buffer
      - .actual_access:  read_only
        .address_space:  global
        .offset:         32
        .size:           8
        .value_kind:     global_buffer
      - .offset:         40
        .size:           4
        .value_kind:     by_value
      - .offset:         44
        .size:           4
        .value_kind:     by_value
      - .offset:         48
        .size:           4
        .value_kind:     by_value
      - .offset:         56
        .size:           4
        .value_kind:     hidden_block_count_x
      - .offset:         60
        .size:           4
        .value_kind:     hidden_block_count_y
      - .offset:         64
        .size:           4
        .value_kind:     hidden_block_count_z
      - .offset:         68
        .size:           2
        .value_kind:     hidden_group_size_x
      - .offset:         70
        .size:           2
        .value_kind:     hidden_group_size_y
      - .offset:         72
        .size:           2
        .value_kind:     hidden_group_size_z
      - .offset:         74
        .size:           2
        .value_kind:     hidden_remainder_x
      - .offset:         76
        .size:           2
        .value_kind:     hidden_remainder_y
      - .offset:         78
        .size:           2
        .value_kind:     hidden_remainder_z
      - .offset:         96
        .size:           8
        .value_kind:     hidden_global_offset_x
      - .offset:         104
        .size:           8
        .value_kind:     hidden_global_offset_y
      - .offset:         112
        .size:           8
        .value_kind:     hidden_global_offset_z
      - .offset:         120
        .size:           2
        .value_kind:     hidden_grid_dims
    .group_segment_fixed_size: 68
    .kernarg_segment_align: 8
    .kernarg_segment_size: 312
    .language:       OpenCL C
    .language_version:
      - 2
      - 0
    .max_flat_workgroup_size: 1024
    .name:           _ZN4vllm32rms_norm_static_fp8_quant_kernelIN3c104HalfENS1_13Float8_e4m3fnELi1EEEvPT0_PKT_iS8_PKffii
    .private_segment_fixed_size: 0
    .sgpr_count:     26
    .sgpr_spill_count: 0
    .symbol:         _ZN4vllm32rms_norm_static_fp8_quant_kernelIN3c104HalfENS1_13Float8_e4m3fnELi1EEEvPT0_PKT_iS8_PKffii.kd
    .uniform_work_group_size: 1
    .uses_dynamic_stack: false
    .vgpr_count:     8
    .vgpr_spill_count: 0
    .wavefront_size: 64
  - .agpr_count:     0
    .args:
      - .actual_access:  write_only
        .address_space:  global
        .offset:         0
        .size:           8
        .value_kind:     global_buffer
      - .address_space:  global
        .offset:         8
        .size:           8
        .value_kind:     global_buffer
      - .offset:         16
        .size:           4
        .value_kind:     by_value
      - .actual_access:  read_only
        .address_space:  global
        .offset:         24
        .size:           8
        .value_kind:     global_buffer
      - .actual_access:  read_only
        .address_space:  global
        .offset:         32
        .size:           8
        .value_kind:     global_buffer
      - .offset:         40
        .size:           4
        .value_kind:     by_value
      - .offset:         44
        .size:           4
        .value_kind:     by_value
      - .offset:         48
        .size:           4
        .value_kind:     by_value
      - .offset:         56
        .size:           4
        .value_kind:     hidden_block_count_x
      - .offset:         60
        .size:           4
        .value_kind:     hidden_block_count_y
      - .offset:         64
        .size:           4
        .value_kind:     hidden_block_count_z
      - .offset:         68
        .size:           2
        .value_kind:     hidden_group_size_x
      - .offset:         70
        .size:           2
        .value_kind:     hidden_group_size_y
      - .offset:         72
        .size:           2
        .value_kind:     hidden_group_size_z
      - .offset:         74
        .size:           2
        .value_kind:     hidden_remainder_x
      - .offset:         76
        .size:           2
        .value_kind:     hidden_remainder_y
      - .offset:         78
        .size:           2
        .value_kind:     hidden_remainder_z
      - .offset:         96
        .size:           8
        .value_kind:     hidden_global_offset_x
      - .offset:         104
        .size:           8
        .value_kind:     hidden_global_offset_y
      - .offset:         112
        .size:           8
        .value_kind:     hidden_global_offset_z
      - .offset:         120
        .size:           2
        .value_kind:     hidden_grid_dims
    .group_segment_fixed_size: 68
    .kernarg_segment_align: 8
    .kernarg_segment_size: 312
    .language:       OpenCL C
    .language_version:
      - 2
      - 0
    .max_flat_workgroup_size: 1024
    .name:           _ZN4vllm32rms_norm_static_fp8_quant_kernelIN3c104HalfENS1_15Float8_e4m3fnuzELi16EEEvPT0_PKT_iS8_PKffii
    .private_segment_fixed_size: 0
    .sgpr_count:     30
    .sgpr_spill_count: 0
    .symbol:         _ZN4vllm32rms_norm_static_fp8_quant_kernelIN3c104HalfENS1_15Float8_e4m3fnuzELi16EEEvPT0_PKT_iS8_PKffii.kd
    .uniform_work_group_size: 1
    .uses_dynamic_stack: false
    .vgpr_count:     60
    .vgpr_spill_count: 0
    .wavefront_size: 64
  - .agpr_count:     0
    .args:
      - .actual_access:  write_only
        .address_space:  global
        .offset:         0
        .size:           8
        .value_kind:     global_buffer
      - .address_space:  global
        .offset:         8
        .size:           8
        .value_kind:     global_buffer
      - .offset:         16
        .size:           4
        .value_kind:     by_value
      - .actual_access:  read_only
        .address_space:  global
        .offset:         24
        .size:           8
        .value_kind:     global_buffer
      - .actual_access:  read_only
        .address_space:  global
        .offset:         32
        .size:           8
        .value_kind:     global_buffer
      - .offset:         40
        .size:           4
        .value_kind:     by_value
      - .offset:         44
        .size:           4
        .value_kind:     by_value
      - .offset:         48
        .size:           4
        .value_kind:     by_value
      - .offset:         56
        .size:           4
        .value_kind:     hidden_block_count_x
      - .offset:         60
        .size:           4
        .value_kind:     hidden_block_count_y
      - .offset:         64
        .size:           4
        .value_kind:     hidden_block_count_z
      - .offset:         68
        .size:           2
        .value_kind:     hidden_group_size_x
      - .offset:         70
        .size:           2
        .value_kind:     hidden_group_size_y
      - .offset:         72
        .size:           2
        .value_kind:     hidden_group_size_z
      - .offset:         74
        .size:           2
        .value_kind:     hidden_remainder_x
      - .offset:         76
        .size:           2
        .value_kind:     hidden_remainder_y
      - .offset:         78
        .size:           2
        .value_kind:     hidden_remainder_z
      - .offset:         96
        .size:           8
        .value_kind:     hidden_global_offset_x
      - .offset:         104
        .size:           8
        .value_kind:     hidden_global_offset_y
      - .offset:         112
        .size:           8
        .value_kind:     hidden_global_offset_z
      - .offset:         120
        .size:           2
        .value_kind:     hidden_grid_dims
    .group_segment_fixed_size: 68
    .kernarg_segment_align: 8
    .kernarg_segment_size: 312
    .language:       OpenCL C
    .language_version:
      - 2
      - 0
    .max_flat_workgroup_size: 1024
    .name:           _ZN4vllm32rms_norm_static_fp8_quant_kernelIN3c104HalfENS1_15Float8_e4m3fnuzELi8EEEvPT0_PKT_iS8_PKffii
    .private_segment_fixed_size: 0
    .sgpr_count:     34
    .sgpr_spill_count: 0
    .symbol:         _ZN4vllm32rms_norm_static_fp8_quant_kernelIN3c104HalfENS1_15Float8_e4m3fnuzELi8EEEvPT0_PKT_iS8_PKffii.kd
    .uniform_work_group_size: 1
    .uses_dynamic_stack: false
    .vgpr_count:     38
    .vgpr_spill_count: 0
    .wavefront_size: 64
  - .agpr_count:     0
    .args:
      - .actual_access:  write_only
        .address_space:  global
        .offset:         0
        .size:           8
        .value_kind:     global_buffer
      - .address_space:  global
        .offset:         8
        .size:           8
        .value_kind:     global_buffer
      - .offset:         16
        .size:           4
        .value_kind:     by_value
      - .actual_access:  read_only
        .address_space:  global
        .offset:         24
        .size:           8
        .value_kind:     global_buffer
      - .actual_access:  read_only
        .address_space:  global
        .offset:         32
        .size:           8
        .value_kind:     global_buffer
      - .offset:         40
        .size:           4
        .value_kind:     by_value
      - .offset:         44
        .size:           4
        .value_kind:     by_value
      - .offset:         48
        .size:           4
        .value_kind:     by_value
      - .offset:         56
        .size:           4
        .value_kind:     hidden_block_count_x
      - .offset:         60
        .size:           4
        .value_kind:     hidden_block_count_y
      - .offset:         64
        .size:           4
        .value_kind:     hidden_block_count_z
      - .offset:         68
        .size:           2
        .value_kind:     hidden_group_size_x
      - .offset:         70
        .size:           2
        .value_kind:     hidden_group_size_y
      - .offset:         72
        .size:           2
        .value_kind:     hidden_group_size_z
      - .offset:         74
        .size:           2
        .value_kind:     hidden_remainder_x
      - .offset:         76
        .size:           2
        .value_kind:     hidden_remainder_y
      - .offset:         78
        .size:           2
        .value_kind:     hidden_remainder_z
      - .offset:         96
        .size:           8
        .value_kind:     hidden_global_offset_x
      - .offset:         104
        .size:           8
        .value_kind:     hidden_global_offset_y
      - .offset:         112
        .size:           8
        .value_kind:     hidden_global_offset_z
      - .offset:         120
        .size:           2
        .value_kind:     hidden_grid_dims
    .group_segment_fixed_size: 68
    .kernarg_segment_align: 8
    .kernarg_segment_size: 312
    .language:       OpenCL C
    .language_version:
      - 2
      - 0
    .max_flat_workgroup_size: 1024
    .name:           _ZN4vllm32rms_norm_static_fp8_quant_kernelIN3c104HalfENS1_15Float8_e4m3fnuzELi4EEEvPT0_PKT_iS8_PKffii
    .private_segment_fixed_size: 0
    .sgpr_count:     28
    .sgpr_spill_count: 0
    .symbol:         _ZN4vllm32rms_norm_static_fp8_quant_kernelIN3c104HalfENS1_15Float8_e4m3fnuzELi4EEEvPT0_PKT_iS8_PKffii.kd
    .uniform_work_group_size: 1
    .uses_dynamic_stack: false
    .vgpr_count:     22
    .vgpr_spill_count: 0
    .wavefront_size: 64
  - .agpr_count:     0
    .args:
      - .actual_access:  write_only
        .address_space:  global
        .offset:         0
        .size:           8
        .value_kind:     global_buffer
      - .address_space:  global
        .offset:         8
        .size:           8
        .value_kind:     global_buffer
      - .offset:         16
        .size:           4
        .value_kind:     by_value
      - .actual_access:  read_only
        .address_space:  global
        .offset:         24
        .size:           8
        .value_kind:     global_buffer
      - .actual_access:  read_only
        .address_space:  global
        .offset:         32
        .size:           8
        .value_kind:     global_buffer
      - .offset:         40
        .size:           4
        .value_kind:     by_value
      - .offset:         44
        .size:           4
        .value_kind:     by_value
      - .offset:         48
        .size:           4
        .value_kind:     by_value
      - .offset:         56
        .size:           4
        .value_kind:     hidden_block_count_x
      - .offset:         60
        .size:           4
        .value_kind:     hidden_block_count_y
      - .offset:         64
        .size:           4
        .value_kind:     hidden_block_count_z
      - .offset:         68
        .size:           2
        .value_kind:     hidden_group_size_x
      - .offset:         70
        .size:           2
        .value_kind:     hidden_group_size_y
      - .offset:         72
        .size:           2
        .value_kind:     hidden_group_size_z
      - .offset:         74
        .size:           2
        .value_kind:     hidden_remainder_x
      - .offset:         76
        .size:           2
        .value_kind:     hidden_remainder_y
      - .offset:         78
        .size:           2
        .value_kind:     hidden_remainder_z
      - .offset:         96
        .size:           8
        .value_kind:     hidden_global_offset_x
      - .offset:         104
        .size:           8
        .value_kind:     hidden_global_offset_y
      - .offset:         112
        .size:           8
        .value_kind:     hidden_global_offset_z
      - .offset:         120
        .size:           2
        .value_kind:     hidden_grid_dims
    .group_segment_fixed_size: 68
    .kernarg_segment_align: 8
    .kernarg_segment_size: 312
    .language:       OpenCL C
    .language_version:
      - 2
      - 0
    .max_flat_workgroup_size: 1024
    .name:           _ZN4vllm32rms_norm_static_fp8_quant_kernelIN3c104HalfENS1_15Float8_e4m3fnuzELi2EEEvPT0_PKT_iS8_PKffii
    .private_segment_fixed_size: 0
    .sgpr_count:     28
    .sgpr_spill_count: 0
    .symbol:         _ZN4vllm32rms_norm_static_fp8_quant_kernelIN3c104HalfENS1_15Float8_e4m3fnuzELi2EEEvPT0_PKT_iS8_PKffii.kd
    .uniform_work_group_size: 1
    .uses_dynamic_stack: false
    .vgpr_count:     14
    .vgpr_spill_count: 0
    .wavefront_size: 64
  - .agpr_count:     0
    .args:
      - .actual_access:  write_only
        .address_space:  global
        .offset:         0
        .size:           8
        .value_kind:     global_buffer
      - .address_space:  global
        .offset:         8
        .size:           8
        .value_kind:     global_buffer
      - .offset:         16
        .size:           4
        .value_kind:     by_value
      - .actual_access:  read_only
        .address_space:  global
        .offset:         24
        .size:           8
        .value_kind:     global_buffer
      - .actual_access:  read_only
        .address_space:  global
        .offset:         32
        .size:           8
        .value_kind:     global_buffer
      - .offset:         40
        .size:           4
        .value_kind:     by_value
      - .offset:         44
        .size:           4
        .value_kind:     by_value
      - .offset:         48
        .size:           4
        .value_kind:     by_value
      - .offset:         56
        .size:           4
        .value_kind:     hidden_block_count_x
      - .offset:         60
        .size:           4
        .value_kind:     hidden_block_count_y
      - .offset:         64
        .size:           4
        .value_kind:     hidden_block_count_z
      - .offset:         68
        .size:           2
        .value_kind:     hidden_group_size_x
      - .offset:         70
        .size:           2
        .value_kind:     hidden_group_size_y
      - .offset:         72
        .size:           2
        .value_kind:     hidden_group_size_z
      - .offset:         74
        .size:           2
        .value_kind:     hidden_remainder_x
      - .offset:         76
        .size:           2
        .value_kind:     hidden_remainder_y
      - .offset:         78
        .size:           2
        .value_kind:     hidden_remainder_z
      - .offset:         96
        .size:           8
        .value_kind:     hidden_global_offset_x
      - .offset:         104
        .size:           8
        .value_kind:     hidden_global_offset_y
      - .offset:         112
        .size:           8
        .value_kind:     hidden_global_offset_z
      - .offset:         120
        .size:           2
        .value_kind:     hidden_grid_dims
    .group_segment_fixed_size: 68
    .kernarg_segment_align: 8
    .kernarg_segment_size: 312
    .language:       OpenCL C
    .language_version:
      - 2
      - 0
    .max_flat_workgroup_size: 1024
    .name:           _ZN4vllm32rms_norm_static_fp8_quant_kernelIN3c104HalfENS1_15Float8_e4m3fnuzELi1EEEvPT0_PKT_iS8_PKffii
    .private_segment_fixed_size: 0
    .sgpr_count:     25
    .sgpr_spill_count: 0
    .symbol:         _ZN4vllm32rms_norm_static_fp8_quant_kernelIN3c104HalfENS1_15Float8_e4m3fnuzELi1EEEvPT0_PKT_iS8_PKffii.kd
    .uniform_work_group_size: 1
    .uses_dynamic_stack: false
    .vgpr_count:     10
    .vgpr_spill_count: 0
    .wavefront_size: 64
  - .agpr_count:     0
    .args:
      - .actual_access:  write_only
        .address_space:  global
        .offset:         0
        .size:           8
        .value_kind:     global_buffer
      - .address_space:  global
        .offset:         8
        .size:           8
        .value_kind:     global_buffer
      - .offset:         16
        .size:           4
        .value_kind:     by_value
      - .actual_access:  read_only
        .address_space:  global
        .offset:         24
        .size:           8
        .value_kind:     global_buffer
      - .actual_access:  read_only
        .address_space:  global
        .offset:         32
        .size:           8
        .value_kind:     global_buffer
      - .offset:         40
        .size:           4
        .value_kind:     by_value
      - .offset:         44
        .size:           4
        .value_kind:     by_value
      - .offset:         48
        .size:           4
        .value_kind:     by_value
      - .offset:         56
        .size:           4
        .value_kind:     hidden_block_count_x
      - .offset:         60
        .size:           4
        .value_kind:     hidden_block_count_y
      - .offset:         64
        .size:           4
        .value_kind:     hidden_block_count_z
      - .offset:         68
        .size:           2
        .value_kind:     hidden_group_size_x
      - .offset:         70
        .size:           2
        .value_kind:     hidden_group_size_y
      - .offset:         72
        .size:           2
        .value_kind:     hidden_group_size_z
      - .offset:         74
        .size:           2
        .value_kind:     hidden_remainder_x
      - .offset:         76
        .size:           2
        .value_kind:     hidden_remainder_y
      - .offset:         78
        .size:           2
        .value_kind:     hidden_remainder_z
      - .offset:         96
        .size:           8
        .value_kind:     hidden_global_offset_x
      - .offset:         104
        .size:           8
        .value_kind:     hidden_global_offset_y
      - .offset:         112
        .size:           8
        .value_kind:     hidden_global_offset_z
      - .offset:         120
        .size:           2
        .value_kind:     hidden_grid_dims
    .group_segment_fixed_size: 68
    .kernarg_segment_align: 8
    .kernarg_segment_size: 312
    .language:       OpenCL C
    .language_version:
      - 2
      - 0
    .max_flat_workgroup_size: 1024
    .name:           _ZN4vllm32rms_norm_static_fp8_quant_kernelIN3c108BFloat16ENS1_13Float8_e4m3fnELi16EEEvPT0_PKT_iS8_PKffii
    .private_segment_fixed_size: 0
    .sgpr_count:     28
    .sgpr_spill_count: 0
    .symbol:         _ZN4vllm32rms_norm_static_fp8_quant_kernelIN3c108BFloat16ENS1_13Float8_e4m3fnELi16EEEvPT0_PKT_iS8_PKffii.kd
    .uniform_work_group_size: 1
    .uses_dynamic_stack: false
    .vgpr_count:     28
    .vgpr_spill_count: 0
    .wavefront_size: 64
  - .agpr_count:     0
    .args:
      - .actual_access:  write_only
        .address_space:  global
        .offset:         0
        .size:           8
        .value_kind:     global_buffer
      - .address_space:  global
        .offset:         8
        .size:           8
        .value_kind:     global_buffer
      - .offset:         16
        .size:           4
        .value_kind:     by_value
      - .actual_access:  read_only
        .address_space:  global
        .offset:         24
        .size:           8
        .value_kind:     global_buffer
      - .actual_access:  read_only
        .address_space:  global
        .offset:         32
        .size:           8
        .value_kind:     global_buffer
      - .offset:         40
        .size:           4
        .value_kind:     by_value
      - .offset:         44
        .size:           4
        .value_kind:     by_value
      - .offset:         48
        .size:           4
        .value_kind:     by_value
      - .offset:         56
        .size:           4
        .value_kind:     hidden_block_count_x
      - .offset:         60
        .size:           4
        .value_kind:     hidden_block_count_y
      - .offset:         64
        .size:           4
        .value_kind:     hidden_block_count_z
      - .offset:         68
        .size:           2
        .value_kind:     hidden_group_size_x
      - .offset:         70
        .size:           2
        .value_kind:     hidden_group_size_y
      - .offset:         72
        .size:           2
        .value_kind:     hidden_group_size_z
      - .offset:         74
        .size:           2
        .value_kind:     hidden_remainder_x
      - .offset:         76
        .size:           2
        .value_kind:     hidden_remainder_y
      - .offset:         78
        .size:           2
        .value_kind:     hidden_remainder_z
      - .offset:         96
        .size:           8
        .value_kind:     hidden_global_offset_x
      - .offset:         104
        .size:           8
        .value_kind:     hidden_global_offset_y
      - .offset:         112
        .size:           8
        .value_kind:     hidden_global_offset_z
      - .offset:         120
        .size:           2
        .value_kind:     hidden_grid_dims
    .group_segment_fixed_size: 68
    .kernarg_segment_align: 8
    .kernarg_segment_size: 312
    .language:       OpenCL C
    .language_version:
      - 2
      - 0
    .max_flat_workgroup_size: 1024
    .name:           _ZN4vllm32rms_norm_static_fp8_quant_kernelIN3c108BFloat16ENS1_13Float8_e4m3fnELi8EEEvPT0_PKT_iS8_PKffii
    .private_segment_fixed_size: 0
    .sgpr_count:     28
    .sgpr_spill_count: 0
    .symbol:         _ZN4vllm32rms_norm_static_fp8_quant_kernelIN3c108BFloat16ENS1_13Float8_e4m3fnELi8EEEvPT0_PKT_iS8_PKffii.kd
    .uniform_work_group_size: 1
    .uses_dynamic_stack: false
    .vgpr_count:     19
    .vgpr_spill_count: 0
    .wavefront_size: 64
  - .agpr_count:     0
    .args:
      - .actual_access:  write_only
        .address_space:  global
        .offset:         0
        .size:           8
        .value_kind:     global_buffer
      - .address_space:  global
        .offset:         8
        .size:           8
        .value_kind:     global_buffer
      - .offset:         16
        .size:           4
        .value_kind:     by_value
      - .actual_access:  read_only
        .address_space:  global
        .offset:         24
        .size:           8
        .value_kind:     global_buffer
      - .actual_access:  read_only
        .address_space:  global
        .offset:         32
        .size:           8
        .value_kind:     global_buffer
      - .offset:         40
        .size:           4
        .value_kind:     by_value
      - .offset:         44
        .size:           4
        .value_kind:     by_value
      - .offset:         48
        .size:           4
        .value_kind:     by_value
      - .offset:         56
        .size:           4
        .value_kind:     hidden_block_count_x
      - .offset:         60
        .size:           4
        .value_kind:     hidden_block_count_y
      - .offset:         64
        .size:           4
        .value_kind:     hidden_block_count_z
      - .offset:         68
        .size:           2
        .value_kind:     hidden_group_size_x
      - .offset:         70
        .size:           2
        .value_kind:     hidden_group_size_y
      - .offset:         72
        .size:           2
        .value_kind:     hidden_group_size_z
      - .offset:         74
        .size:           2
        .value_kind:     hidden_remainder_x
      - .offset:         76
        .size:           2
        .value_kind:     hidden_remainder_y
      - .offset:         78
        .size:           2
        .value_kind:     hidden_remainder_z
      - .offset:         96
        .size:           8
        .value_kind:     hidden_global_offset_x
      - .offset:         104
        .size:           8
        .value_kind:     hidden_global_offset_y
      - .offset:         112
        .size:           8
        .value_kind:     hidden_global_offset_z
      - .offset:         120
        .size:           2
        .value_kind:     hidden_grid_dims
    .group_segment_fixed_size: 68
    .kernarg_segment_align: 8
    .kernarg_segment_size: 312
    .language:       OpenCL C
    .language_version:
      - 2
      - 0
    .max_flat_workgroup_size: 1024
    .name:           _ZN4vllm32rms_norm_static_fp8_quant_kernelIN3c108BFloat16ENS1_13Float8_e4m3fnELi4EEEvPT0_PKT_iS8_PKffii
    .private_segment_fixed_size: 0
    .sgpr_count:     29
    .sgpr_spill_count: 0
    .symbol:         _ZN4vllm32rms_norm_static_fp8_quant_kernelIN3c108BFloat16ENS1_13Float8_e4m3fnELi4EEEvPT0_PKT_iS8_PKffii.kd
    .uniform_work_group_size: 1
    .uses_dynamic_stack: false
    .vgpr_count:     16
    .vgpr_spill_count: 0
    .wavefront_size: 64
  - .agpr_count:     0
    .args:
      - .actual_access:  write_only
        .address_space:  global
        .offset:         0
        .size:           8
        .value_kind:     global_buffer
      - .address_space:  global
        .offset:         8
        .size:           8
        .value_kind:     global_buffer
      - .offset:         16
        .size:           4
        .value_kind:     by_value
      - .actual_access:  read_only
        .address_space:  global
        .offset:         24
        .size:           8
        .value_kind:     global_buffer
      - .actual_access:  read_only
        .address_space:  global
        .offset:         32
        .size:           8
        .value_kind:     global_buffer
      - .offset:         40
        .size:           4
        .value_kind:     by_value
      - .offset:         44
        .size:           4
        .value_kind:     by_value
      - .offset:         48
        .size:           4
        .value_kind:     by_value
      - .offset:         56
        .size:           4
        .value_kind:     hidden_block_count_x
      - .offset:         60
        .size:           4
        .value_kind:     hidden_block_count_y
      - .offset:         64
        .size:           4
        .value_kind:     hidden_block_count_z
      - .offset:         68
        .size:           2
        .value_kind:     hidden_group_size_x
      - .offset:         70
        .size:           2
        .value_kind:     hidden_group_size_y
      - .offset:         72
        .size:           2
        .value_kind:     hidden_group_size_z
      - .offset:         74
        .size:           2
        .value_kind:     hidden_remainder_x
      - .offset:         76
        .size:           2
        .value_kind:     hidden_remainder_y
      - .offset:         78
        .size:           2
        .value_kind:     hidden_remainder_z
      - .offset:         96
        .size:           8
        .value_kind:     hidden_global_offset_x
      - .offset:         104
        .size:           8
        .value_kind:     hidden_global_offset_y
      - .offset:         112
        .size:           8
        .value_kind:     hidden_global_offset_z
      - .offset:         120
        .size:           2
        .value_kind:     hidden_grid_dims
    .group_segment_fixed_size: 68
    .kernarg_segment_align: 8
    .kernarg_segment_size: 312
    .language:       OpenCL C
    .language_version:
      - 2
      - 0
    .max_flat_workgroup_size: 1024
    .name:           _ZN4vllm32rms_norm_static_fp8_quant_kernelIN3c108BFloat16ENS1_13Float8_e4m3fnELi2EEEvPT0_PKT_iS8_PKffii
    .private_segment_fixed_size: 0
    .sgpr_count:     29
    .sgpr_spill_count: 0
    .symbol:         _ZN4vllm32rms_norm_static_fp8_quant_kernelIN3c108BFloat16ENS1_13Float8_e4m3fnELi2EEEvPT0_PKT_iS8_PKffii.kd
    .uniform_work_group_size: 1
    .uses_dynamic_stack: false
    .vgpr_count:     13
    .vgpr_spill_count: 0
    .wavefront_size: 64
  - .agpr_count:     0
    .args:
      - .actual_access:  write_only
        .address_space:  global
        .offset:         0
        .size:           8
        .value_kind:     global_buffer
      - .address_space:  global
        .offset:         8
        .size:           8
        .value_kind:     global_buffer
      - .offset:         16
        .size:           4
        .value_kind:     by_value
      - .actual_access:  read_only
        .address_space:  global
        .offset:         24
        .size:           8
        .value_kind:     global_buffer
      - .actual_access:  read_only
        .address_space:  global
        .offset:         32
        .size:           8
        .value_kind:     global_buffer
      - .offset:         40
        .size:           4
        .value_kind:     by_value
      - .offset:         44
        .size:           4
        .value_kind:     by_value
      - .offset:         48
        .size:           4
        .value_kind:     by_value
      - .offset:         56
        .size:           4
        .value_kind:     hidden_block_count_x
      - .offset:         60
        .size:           4
        .value_kind:     hidden_block_count_y
      - .offset:         64
        .size:           4
        .value_kind:     hidden_block_count_z
      - .offset:         68
        .size:           2
        .value_kind:     hidden_group_size_x
      - .offset:         70
        .size:           2
        .value_kind:     hidden_group_size_y
      - .offset:         72
        .size:           2
        .value_kind:     hidden_group_size_z
      - .offset:         74
        .size:           2
        .value_kind:     hidden_remainder_x
      - .offset:         76
        .size:           2
        .value_kind:     hidden_remainder_y
      - .offset:         78
        .size:           2
        .value_kind:     hidden_remainder_z
      - .offset:         96
        .size:           8
        .value_kind:     hidden_global_offset_x
      - .offset:         104
        .size:           8
        .value_kind:     hidden_global_offset_y
      - .offset:         112
        .size:           8
        .value_kind:     hidden_global_offset_z
      - .offset:         120
        .size:           2
        .value_kind:     hidden_grid_dims
    .group_segment_fixed_size: 68
    .kernarg_segment_align: 8
    .kernarg_segment_size: 312
    .language:       OpenCL C
    .language_version:
      - 2
      - 0
    .max_flat_workgroup_size: 1024
    .name:           _ZN4vllm32rms_norm_static_fp8_quant_kernelIN3c108BFloat16ENS1_13Float8_e4m3fnELi1EEEvPT0_PKT_iS8_PKffii
    .private_segment_fixed_size: 0
    .sgpr_count:     27
    .sgpr_spill_count: 0
    .symbol:         _ZN4vllm32rms_norm_static_fp8_quant_kernelIN3c108BFloat16ENS1_13Float8_e4m3fnELi1EEEvPT0_PKT_iS8_PKffii.kd
    .uniform_work_group_size: 1
    .uses_dynamic_stack: false
    .vgpr_count:     10
    .vgpr_spill_count: 0
    .wavefront_size: 64
  - .agpr_count:     0
    .args:
      - .actual_access:  write_only
        .address_space:  global
        .offset:         0
        .size:           8
        .value_kind:     global_buffer
      - .address_space:  global
        .offset:         8
        .size:           8
        .value_kind:     global_buffer
      - .offset:         16
        .size:           4
        .value_kind:     by_value
      - .actual_access:  read_only
        .address_space:  global
        .offset:         24
        .size:           8
        .value_kind:     global_buffer
      - .actual_access:  read_only
        .address_space:  global
        .offset:         32
        .size:           8
        .value_kind:     global_buffer
      - .offset:         40
        .size:           4
        .value_kind:     by_value
      - .offset:         44
        .size:           4
        .value_kind:     by_value
      - .offset:         48
        .size:           4
        .value_kind:     by_value
      - .offset:         56
        .size:           4
        .value_kind:     hidden_block_count_x
      - .offset:         60
        .size:           4
        .value_kind:     hidden_block_count_y
      - .offset:         64
        .size:           4
        .value_kind:     hidden_block_count_z
      - .offset:         68
        .size:           2
        .value_kind:     hidden_group_size_x
      - .offset:         70
        .size:           2
        .value_kind:     hidden_group_size_y
      - .offset:         72
        .size:           2
        .value_kind:     hidden_group_size_z
      - .offset:         74
        .size:           2
        .value_kind:     hidden_remainder_x
      - .offset:         76
        .size:           2
        .value_kind:     hidden_remainder_y
      - .offset:         78
        .size:           2
        .value_kind:     hidden_remainder_z
      - .offset:         96
        .size:           8
        .value_kind:     hidden_global_offset_x
      - .offset:         104
        .size:           8
        .value_kind:     hidden_global_offset_y
      - .offset:         112
        .size:           8
        .value_kind:     hidden_global_offset_z
      - .offset:         120
        .size:           2
        .value_kind:     hidden_grid_dims
    .group_segment_fixed_size: 68
    .kernarg_segment_align: 8
    .kernarg_segment_size: 312
    .language:       OpenCL C
    .language_version:
      - 2
      - 0
    .max_flat_workgroup_size: 1024
    .name:           _ZN4vllm32rms_norm_static_fp8_quant_kernelIN3c108BFloat16ENS1_15Float8_e4m3fnuzELi16EEEvPT0_PKT_iS8_PKffii
    .private_segment_fixed_size: 0
    .sgpr_count:     52
    .sgpr_spill_count: 0
    .symbol:         _ZN4vllm32rms_norm_static_fp8_quant_kernelIN3c108BFloat16ENS1_15Float8_e4m3fnuzELi16EEEvPT0_PKT_iS8_PKffii.kd
    .uniform_work_group_size: 1
    .uses_dynamic_stack: false
    .vgpr_count:     64
    .vgpr_spill_count: 0
    .wavefront_size: 64
  - .agpr_count:     0
    .args:
      - .actual_access:  write_only
        .address_space:  global
        .offset:         0
        .size:           8
        .value_kind:     global_buffer
      - .address_space:  global
        .offset:         8
        .size:           8
        .value_kind:     global_buffer
      - .offset:         16
        .size:           4
        .value_kind:     by_value
      - .actual_access:  read_only
        .address_space:  global
        .offset:         24
        .size:           8
        .value_kind:     global_buffer
      - .actual_access:  read_only
        .address_space:  global
        .offset:         32
        .size:           8
        .value_kind:     global_buffer
      - .offset:         40
        .size:           4
        .value_kind:     by_value
      - .offset:         44
        .size:           4
        .value_kind:     by_value
      - .offset:         48
        .size:           4
        .value_kind:     by_value
      - .offset:         56
        .size:           4
        .value_kind:     hidden_block_count_x
      - .offset:         60
        .size:           4
        .value_kind:     hidden_block_count_y
      - .offset:         64
        .size:           4
        .value_kind:     hidden_block_count_z
      - .offset:         68
        .size:           2
        .value_kind:     hidden_group_size_x
      - .offset:         70
        .size:           2
        .value_kind:     hidden_group_size_y
      - .offset:         72
        .size:           2
        .value_kind:     hidden_group_size_z
      - .offset:         74
        .size:           2
        .value_kind:     hidden_remainder_x
      - .offset:         76
        .size:           2
        .value_kind:     hidden_remainder_y
      - .offset:         78
        .size:           2
        .value_kind:     hidden_remainder_z
      - .offset:         96
        .size:           8
        .value_kind:     hidden_global_offset_x
      - .offset:         104
        .size:           8
        .value_kind:     hidden_global_offset_y
      - .offset:         112
        .size:           8
        .value_kind:     hidden_global_offset_z
      - .offset:         120
        .size:           2
        .value_kind:     hidden_grid_dims
    .group_segment_fixed_size: 68
    .kernarg_segment_align: 8
    .kernarg_segment_size: 312
    .language:       OpenCL C
    .language_version:
      - 2
      - 0
    .max_flat_workgroup_size: 1024
    .name:           _ZN4vllm32rms_norm_static_fp8_quant_kernelIN3c108BFloat16ENS1_15Float8_e4m3fnuzELi8EEEvPT0_PKT_iS8_PKffii
    .private_segment_fixed_size: 0
    .sgpr_count:     35
    .sgpr_spill_count: 0
    .symbol:         _ZN4vllm32rms_norm_static_fp8_quant_kernelIN3c108BFloat16ENS1_15Float8_e4m3fnuzELi8EEEvPT0_PKT_iS8_PKffii.kd
    .uniform_work_group_size: 1
    .uses_dynamic_stack: false
    .vgpr_count:     47
    .vgpr_spill_count: 0
    .wavefront_size: 64
  - .agpr_count:     0
    .args:
      - .actual_access:  write_only
        .address_space:  global
        .offset:         0
        .size:           8
        .value_kind:     global_buffer
      - .address_space:  global
        .offset:         8
        .size:           8
        .value_kind:     global_buffer
      - .offset:         16
        .size:           4
        .value_kind:     by_value
      - .actual_access:  read_only
        .address_space:  global
        .offset:         24
        .size:           8
        .value_kind:     global_buffer
      - .actual_access:  read_only
        .address_space:  global
        .offset:         32
        .size:           8
        .value_kind:     global_buffer
      - .offset:         40
        .size:           4
        .value_kind:     by_value
      - .offset:         44
        .size:           4
        .value_kind:     by_value
      - .offset:         48
        .size:           4
        .value_kind:     by_value
      - .offset:         56
        .size:           4
        .value_kind:     hidden_block_count_x
      - .offset:         60
        .size:           4
        .value_kind:     hidden_block_count_y
      - .offset:         64
        .size:           4
        .value_kind:     hidden_block_count_z
      - .offset:         68
        .size:           2
        .value_kind:     hidden_group_size_x
      - .offset:         70
        .size:           2
        .value_kind:     hidden_group_size_y
      - .offset:         72
        .size:           2
        .value_kind:     hidden_group_size_z
      - .offset:         74
        .size:           2
        .value_kind:     hidden_remainder_x
      - .offset:         76
        .size:           2
        .value_kind:     hidden_remainder_y
      - .offset:         78
        .size:           2
        .value_kind:     hidden_remainder_z
      - .offset:         96
        .size:           8
        .value_kind:     hidden_global_offset_x
      - .offset:         104
        .size:           8
        .value_kind:     hidden_global_offset_y
      - .offset:         112
        .size:           8
        .value_kind:     hidden_global_offset_z
      - .offset:         120
        .size:           2
        .value_kind:     hidden_grid_dims
    .group_segment_fixed_size: 68
    .kernarg_segment_align: 8
    .kernarg_segment_size: 312
    .language:       OpenCL C
    .language_version:
      - 2
      - 0
    .max_flat_workgroup_size: 1024
    .name:           _ZN4vllm32rms_norm_static_fp8_quant_kernelIN3c108BFloat16ENS1_15Float8_e4m3fnuzELi4EEEvPT0_PKT_iS8_PKffii
    .private_segment_fixed_size: 0
    .sgpr_count:     28
    .sgpr_spill_count: 0
    .symbol:         _ZN4vllm32rms_norm_static_fp8_quant_kernelIN3c108BFloat16ENS1_15Float8_e4m3fnuzELi4EEEvPT0_PKT_iS8_PKffii.kd
    .uniform_work_group_size: 1
    .uses_dynamic_stack: false
    .vgpr_count:     27
    .vgpr_spill_count: 0
    .wavefront_size: 64
  - .agpr_count:     0
    .args:
      - .actual_access:  write_only
        .address_space:  global
        .offset:         0
        .size:           8
        .value_kind:     global_buffer
      - .address_space:  global
        .offset:         8
        .size:           8
        .value_kind:     global_buffer
      - .offset:         16
        .size:           4
        .value_kind:     by_value
      - .actual_access:  read_only
        .address_space:  global
        .offset:         24
        .size:           8
        .value_kind:     global_buffer
      - .actual_access:  read_only
        .address_space:  global
        .offset:         32
        .size:           8
        .value_kind:     global_buffer
      - .offset:         40
        .size:           4
        .value_kind:     by_value
      - .offset:         44
        .size:           4
        .value_kind:     by_value
      - .offset:         48
        .size:           4
        .value_kind:     by_value
      - .offset:         56
        .size:           4
        .value_kind:     hidden_block_count_x
      - .offset:         60
        .size:           4
        .value_kind:     hidden_block_count_y
      - .offset:         64
        .size:           4
        .value_kind:     hidden_block_count_z
      - .offset:         68
        .size:           2
        .value_kind:     hidden_group_size_x
      - .offset:         70
        .size:           2
        .value_kind:     hidden_group_size_y
      - .offset:         72
        .size:           2
        .value_kind:     hidden_group_size_z
      - .offset:         74
        .size:           2
        .value_kind:     hidden_remainder_x
      - .offset:         76
        .size:           2
        .value_kind:     hidden_remainder_y
      - .offset:         78
        .size:           2
        .value_kind:     hidden_remainder_z
      - .offset:         96
        .size:           8
        .value_kind:     hidden_global_offset_x
      - .offset:         104
        .size:           8
        .value_kind:     hidden_global_offset_y
      - .offset:         112
        .size:           8
        .value_kind:     hidden_global_offset_z
      - .offset:         120
        .size:           2
        .value_kind:     hidden_grid_dims
    .group_segment_fixed_size: 68
    .kernarg_segment_align: 8
    .kernarg_segment_size: 312
    .language:       OpenCL C
    .language_version:
      - 2
      - 0
    .max_flat_workgroup_size: 1024
    .name:           _ZN4vllm32rms_norm_static_fp8_quant_kernelIN3c108BFloat16ENS1_15Float8_e4m3fnuzELi2EEEvPT0_PKT_iS8_PKffii
    .private_segment_fixed_size: 0
    .sgpr_count:     28
    .sgpr_spill_count: 0
    .symbol:         _ZN4vllm32rms_norm_static_fp8_quant_kernelIN3c108BFloat16ENS1_15Float8_e4m3fnuzELi2EEEvPT0_PKT_iS8_PKffii.kd
    .uniform_work_group_size: 1
    .uses_dynamic_stack: false
    .vgpr_count:     17
    .vgpr_spill_count: 0
    .wavefront_size: 64
  - .agpr_count:     0
    .args:
      - .actual_access:  write_only
        .address_space:  global
        .offset:         0
        .size:           8
        .value_kind:     global_buffer
      - .address_space:  global
        .offset:         8
        .size:           8
        .value_kind:     global_buffer
      - .offset:         16
        .size:           4
        .value_kind:     by_value
      - .actual_access:  read_only
        .address_space:  global
        .offset:         24
        .size:           8
        .value_kind:     global_buffer
      - .actual_access:  read_only
        .address_space:  global
        .offset:         32
        .size:           8
        .value_kind:     global_buffer
      - .offset:         40
        .size:           4
        .value_kind:     by_value
      - .offset:         44
        .size:           4
        .value_kind:     by_value
      - .offset:         48
        .size:           4
        .value_kind:     by_value
      - .offset:         56
        .size:           4
        .value_kind:     hidden_block_count_x
      - .offset:         60
        .size:           4
        .value_kind:     hidden_block_count_y
      - .offset:         64
        .size:           4
        .value_kind:     hidden_block_count_z
      - .offset:         68
        .size:           2
        .value_kind:     hidden_group_size_x
      - .offset:         70
        .size:           2
        .value_kind:     hidden_group_size_y
      - .offset:         72
        .size:           2
        .value_kind:     hidden_group_size_z
      - .offset:         74
        .size:           2
        .value_kind:     hidden_remainder_x
      - .offset:         76
        .size:           2
        .value_kind:     hidden_remainder_y
      - .offset:         78
        .size:           2
        .value_kind:     hidden_remainder_z
      - .offset:         96
        .size:           8
        .value_kind:     hidden_global_offset_x
      - .offset:         104
        .size:           8
        .value_kind:     hidden_global_offset_y
      - .offset:         112
        .size:           8
        .value_kind:     hidden_global_offset_z
      - .offset:         120
        .size:           2
        .value_kind:     hidden_grid_dims
    .group_segment_fixed_size: 68
    .kernarg_segment_align: 8
    .kernarg_segment_size: 312
    .language:       OpenCL C
    .language_version:
      - 2
      - 0
    .max_flat_workgroup_size: 1024
    .name:           _ZN4vllm32rms_norm_static_fp8_quant_kernelIN3c108BFloat16ENS1_15Float8_e4m3fnuzELi1EEEvPT0_PKT_iS8_PKffii
    .private_segment_fixed_size: 0
    .sgpr_count:     25
    .sgpr_spill_count: 0
    .symbol:         _ZN4vllm32rms_norm_static_fp8_quant_kernelIN3c108BFloat16ENS1_15Float8_e4m3fnuzELi1EEEvPT0_PKT_iS8_PKffii.kd
    .uniform_work_group_size: 1
    .uses_dynamic_stack: false
    .vgpr_count:     11
    .vgpr_spill_count: 0
    .wavefront_size: 64
  - .agpr_count:     0
    .args:
      - .actual_access:  write_only
        .address_space:  global
        .offset:         0
        .size:           8
        .value_kind:     global_buffer
      - .actual_access:  read_only
        .address_space:  global
        .offset:         8
        .size:           8
        .value_kind:     global_buffer
      - .offset:         16
        .size:           4
        .value_kind:     by_value
      - .address_space:  global
        .offset:         24
        .size:           8
        .value_kind:     global_buffer
      - .actual_access:  read_only
        .address_space:  global
        .offset:         32
        .size:           8
        .value_kind:     global_buffer
      - .actual_access:  read_only
        .address_space:  global
        .offset:         40
        .size:           8
        .value_kind:     global_buffer
      - .offset:         48
        .size:           4
        .value_kind:     by_value
      - .offset:         52
        .size:           4
        .value_kind:     by_value
      - .offset:         56
        .size:           4
        .value_kind:     by_value
      - .offset:         64
        .size:           4
        .value_kind:     hidden_block_count_x
      - .offset:         68
        .size:           4
        .value_kind:     hidden_block_count_y
      - .offset:         72
        .size:           4
        .value_kind:     hidden_block_count_z
      - .offset:         76
        .size:           2
        .value_kind:     hidden_group_size_x
      - .offset:         78
        .size:           2
        .value_kind:     hidden_group_size_y
      - .offset:         80
        .size:           2
        .value_kind:     hidden_group_size_z
      - .offset:         82
        .size:           2
        .value_kind:     hidden_remainder_x
      - .offset:         84
        .size:           2
        .value_kind:     hidden_remainder_y
      - .offset:         86
        .size:           2
        .value_kind:     hidden_remainder_z
      - .offset:         104
        .size:           8
        .value_kind:     hidden_global_offset_x
      - .offset:         112
        .size:           8
        .value_kind:     hidden_global_offset_y
      - .offset:         120
        .size:           8
        .value_kind:     hidden_global_offset_z
      - .offset:         128
        .size:           2
        .value_kind:     hidden_grid_dims
    .group_segment_fixed_size: 68
    .kernarg_segment_align: 8
    .kernarg_segment_size: 320
    .language:       OpenCL C
    .language_version:
      - 2
      - 0
    .max_flat_workgroup_size: 1024
    .name:           _ZN4vllm42fused_add_rms_norm_static_fp8_quant_kernelIfLi8EN3c1013Float8_e4m3fnEEENSt9enable_ifIXaagtT0_Li0Esr12_typeConvertIT_EE6existsEvE4typeEPT1_PS4_iS9_PKS4_PKffii
    .private_segment_fixed_size: 0
    .sgpr_count:     27
    .sgpr_spill_count: 0
    .symbol:         _ZN4vllm42fused_add_rms_norm_static_fp8_quant_kernelIfLi8EN3c1013Float8_e4m3fnEEENSt9enable_ifIXaagtT0_Li0Esr12_typeConvertIT_EE6existsEvE4typeEPT1_PS4_iS9_PKS4_PKffii.kd
    .uniform_work_group_size: 1
    .uses_dynamic_stack: false
    .vgpr_count:     30
    .vgpr_spill_count: 0
    .wavefront_size: 64
  - .agpr_count:     0
    .args:
      - .actual_access:  write_only
        .address_space:  global
        .offset:         0
        .size:           8
        .value_kind:     global_buffer
      - .actual_access:  read_only
        .address_space:  global
        .offset:         8
        .size:           8
        .value_kind:     global_buffer
      - .offset:         16
        .size:           4
        .value_kind:     by_value
      - .address_space:  global
        .offset:         24
        .size:           8
        .value_kind:     global_buffer
      - .actual_access:  read_only
        .address_space:  global
        .offset:         32
        .size:           8
        .value_kind:     global_buffer
      - .actual_access:  read_only
        .address_space:  global
        .offset:         40
        .size:           8
        .value_kind:     global_buffer
      - .offset:         48
        .size:           4
        .value_kind:     by_value
      - .offset:         52
        .size:           4
        .value_kind:     by_value
      - .offset:         56
        .size:           4
        .value_kind:     by_value
      - .offset:         64
        .size:           4
        .value_kind:     hidden_block_count_x
      - .offset:         68
        .size:           4
        .value_kind:     hidden_block_count_y
      - .offset:         72
        .size:           4
        .value_kind:     hidden_block_count_z
      - .offset:         76
        .size:           2
        .value_kind:     hidden_group_size_x
      - .offset:         78
        .size:           2
        .value_kind:     hidden_group_size_y
      - .offset:         80
        .size:           2
        .value_kind:     hidden_group_size_z
      - .offset:         82
        .size:           2
        .value_kind:     hidden_remainder_x
      - .offset:         84
        .size:           2
        .value_kind:     hidden_remainder_y
      - .offset:         86
        .size:           2
        .value_kind:     hidden_remainder_z
      - .offset:         104
        .size:           8
        .value_kind:     hidden_global_offset_x
      - .offset:         112
        .size:           8
        .value_kind:     hidden_global_offset_y
      - .offset:         120
        .size:           8
        .value_kind:     hidden_global_offset_z
      - .offset:         128
        .size:           2
        .value_kind:     hidden_grid_dims
    .group_segment_fixed_size: 68
    .kernarg_segment_align: 8
    .kernarg_segment_size: 320
    .language:       OpenCL C
    .language_version:
      - 2
      - 0
    .max_flat_workgroup_size: 1024
    .name:           _ZN4vllm42fused_add_rms_norm_static_fp8_quant_kernelIfLi8EN3c1015Float8_e4m3fnuzEEENSt9enable_ifIXaagtT0_Li0Esr12_typeConvertIT_EE6existsEvE4typeEPT1_PS4_iS9_PKS4_PKffii
    .private_segment_fixed_size: 0
    .sgpr_count:     30
    .sgpr_spill_count: 0
    .symbol:         _ZN4vllm42fused_add_rms_norm_static_fp8_quant_kernelIfLi8EN3c1015Float8_e4m3fnuzEEENSt9enable_ifIXaagtT0_Li0Esr12_typeConvertIT_EE6existsEvE4typeEPT1_PS4_iS9_PKS4_PKffii.kd
    .uniform_work_group_size: 1
    .uses_dynamic_stack: false
    .vgpr_count:     38
    .vgpr_spill_count: 0
    .wavefront_size: 64
  - .agpr_count:     0
    .args:
      - .actual_access:  write_only
        .address_space:  global
        .offset:         0
        .size:           8
        .value_kind:     global_buffer
      - .actual_access:  read_only
        .address_space:  global
        .offset:         8
        .size:           8
        .value_kind:     global_buffer
      - .offset:         16
        .size:           4
        .value_kind:     by_value
      - .address_space:  global
        .offset:         24
        .size:           8
        .value_kind:     global_buffer
      - .actual_access:  read_only
        .address_space:  global
        .offset:         32
        .size:           8
        .value_kind:     global_buffer
      - .actual_access:  read_only
        .address_space:  global
        .offset:         40
        .size:           8
        .value_kind:     global_buffer
      - .offset:         48
        .size:           4
        .value_kind:     by_value
      - .offset:         52
        .size:           4
        .value_kind:     by_value
      - .offset:         56
        .size:           4
        .value_kind:     by_value
      - .offset:         64
        .size:           4
        .value_kind:     hidden_block_count_x
      - .offset:         68
        .size:           4
        .value_kind:     hidden_block_count_y
      - .offset:         72
        .size:           4
        .value_kind:     hidden_block_count_z
      - .offset:         76
        .size:           2
        .value_kind:     hidden_group_size_x
      - .offset:         78
        .size:           2
        .value_kind:     hidden_group_size_y
      - .offset:         80
        .size:           2
        .value_kind:     hidden_group_size_z
      - .offset:         82
        .size:           2
        .value_kind:     hidden_remainder_x
      - .offset:         84
        .size:           2
        .value_kind:     hidden_remainder_y
      - .offset:         86
        .size:           2
        .value_kind:     hidden_remainder_z
      - .offset:         104
        .size:           8
        .value_kind:     hidden_global_offset_x
      - .offset:         112
        .size:           8
        .value_kind:     hidden_global_offset_y
      - .offset:         120
        .size:           8
        .value_kind:     hidden_global_offset_z
      - .offset:         128
        .size:           2
        .value_kind:     hidden_grid_dims
    .group_segment_fixed_size: 68
    .kernarg_segment_align: 8
    .kernarg_segment_size: 320
    .language:       OpenCL C
    .language_version:
      - 2
      - 0
    .max_flat_workgroup_size: 1024
    .name:           _ZN4vllm42fused_add_rms_norm_static_fp8_quant_kernelIN3c104HalfELi8ENS1_13Float8_e4m3fnEEENSt9enable_ifIXaagtT0_Li0Esr12_typeConvertIT_EE6existsEvE4typeEPT1_PS5_iSA_PKS5_PKffii
    .private_segment_fixed_size: 0
    .sgpr_count:     27
    .sgpr_spill_count: 0
    .symbol:         _ZN4vllm42fused_add_rms_norm_static_fp8_quant_kernelIN3c104HalfELi8ENS1_13Float8_e4m3fnEEENSt9enable_ifIXaagtT0_Li0Esr12_typeConvertIT_EE6existsEvE4typeEPT1_PS5_iSA_PKS5_PKffii.kd
    .uniform_work_group_size: 1
    .uses_dynamic_stack: false
    .vgpr_count:     23
    .vgpr_spill_count: 0
    .wavefront_size: 64
  - .agpr_count:     0
    .args:
      - .actual_access:  write_only
        .address_space:  global
        .offset:         0
        .size:           8
        .value_kind:     global_buffer
      - .actual_access:  read_only
        .address_space:  global
        .offset:         8
        .size:           8
        .value_kind:     global_buffer
      - .offset:         16
        .size:           4
        .value_kind:     by_value
      - .address_space:  global
        .offset:         24
        .size:           8
        .value_kind:     global_buffer
      - .actual_access:  read_only
        .address_space:  global
        .offset:         32
        .size:           8
        .value_kind:     global_buffer
      - .actual_access:  read_only
        .address_space:  global
        .offset:         40
        .size:           8
        .value_kind:     global_buffer
      - .offset:         48
        .size:           4
        .value_kind:     by_value
      - .offset:         52
        .size:           4
        .value_kind:     by_value
      - .offset:         56
        .size:           4
        .value_kind:     by_value
      - .offset:         64
        .size:           4
        .value_kind:     hidden_block_count_x
      - .offset:         68
        .size:           4
        .value_kind:     hidden_block_count_y
      - .offset:         72
        .size:           4
        .value_kind:     hidden_block_count_z
      - .offset:         76
        .size:           2
        .value_kind:     hidden_group_size_x
      - .offset:         78
        .size:           2
        .value_kind:     hidden_group_size_y
      - .offset:         80
        .size:           2
        .value_kind:     hidden_group_size_z
      - .offset:         82
        .size:           2
        .value_kind:     hidden_remainder_x
      - .offset:         84
        .size:           2
        .value_kind:     hidden_remainder_y
      - .offset:         86
        .size:           2
        .value_kind:     hidden_remainder_z
      - .offset:         104
        .size:           8
        .value_kind:     hidden_global_offset_x
      - .offset:         112
        .size:           8
        .value_kind:     hidden_global_offset_y
      - .offset:         120
        .size:           8
        .value_kind:     hidden_global_offset_z
      - .offset:         128
        .size:           2
        .value_kind:     hidden_grid_dims
    .group_segment_fixed_size: 68
    .kernarg_segment_align: 8
    .kernarg_segment_size: 320
    .language:       OpenCL C
    .language_version:
      - 2
      - 0
    .max_flat_workgroup_size: 1024
    .name:           _ZN4vllm42fused_add_rms_norm_static_fp8_quant_kernelIN3c104HalfELi8ENS1_15Float8_e4m3fnuzEEENSt9enable_ifIXaagtT0_Li0Esr12_typeConvertIT_EE6existsEvE4typeEPT1_PS5_iSA_PKS5_PKffii
    .private_segment_fixed_size: 0
    .sgpr_count:     30
    .sgpr_spill_count: 0
    .symbol:         _ZN4vllm42fused_add_rms_norm_static_fp8_quant_kernelIN3c104HalfELi8ENS1_15Float8_e4m3fnuzEEENSt9enable_ifIXaagtT0_Li0Esr12_typeConvertIT_EE6existsEvE4typeEPT1_PS5_iSA_PKS5_PKffii.kd
    .uniform_work_group_size: 1
    .uses_dynamic_stack: false
    .vgpr_count:     37
    .vgpr_spill_count: 0
    .wavefront_size: 64
  - .agpr_count:     0
    .args:
      - .actual_access:  write_only
        .address_space:  global
        .offset:         0
        .size:           8
        .value_kind:     global_buffer
      - .actual_access:  read_only
        .address_space:  global
        .offset:         8
        .size:           8
        .value_kind:     global_buffer
      - .offset:         16
        .size:           4
        .value_kind:     by_value
      - .address_space:  global
        .offset:         24
        .size:           8
        .value_kind:     global_buffer
      - .actual_access:  read_only
        .address_space:  global
        .offset:         32
        .size:           8
        .value_kind:     global_buffer
      - .actual_access:  read_only
        .address_space:  global
        .offset:         40
        .size:           8
        .value_kind:     global_buffer
      - .offset:         48
        .size:           4
        .value_kind:     by_value
      - .offset:         52
        .size:           4
        .value_kind:     by_value
      - .offset:         56
        .size:           4
        .value_kind:     by_value
      - .offset:         64
        .size:           4
        .value_kind:     hidden_block_count_x
      - .offset:         68
        .size:           4
        .value_kind:     hidden_block_count_y
      - .offset:         72
        .size:           4
        .value_kind:     hidden_block_count_z
      - .offset:         76
        .size:           2
        .value_kind:     hidden_group_size_x
      - .offset:         78
        .size:           2
        .value_kind:     hidden_group_size_y
      - .offset:         80
        .size:           2
        .value_kind:     hidden_group_size_z
      - .offset:         82
        .size:           2
        .value_kind:     hidden_remainder_x
      - .offset:         84
        .size:           2
        .value_kind:     hidden_remainder_y
      - .offset:         86
        .size:           2
        .value_kind:     hidden_remainder_z
      - .offset:         104
        .size:           8
        .value_kind:     hidden_global_offset_x
      - .offset:         112
        .size:           8
        .value_kind:     hidden_global_offset_y
      - .offset:         120
        .size:           8
        .value_kind:     hidden_global_offset_z
      - .offset:         128
        .size:           2
        .value_kind:     hidden_grid_dims
    .group_segment_fixed_size: 68
    .kernarg_segment_align: 8
    .kernarg_segment_size: 320
    .language:       OpenCL C
    .language_version:
      - 2
      - 0
    .max_flat_workgroup_size: 1024
    .name:           _ZN4vllm42fused_add_rms_norm_static_fp8_quant_kernelIN3c108BFloat16ELi8ENS1_13Float8_e4m3fnEEENSt9enable_ifIXaagtT0_Li0Esr12_typeConvertIT_EE6existsEvE4typeEPT1_PS5_iSA_PKS5_PKffii
    .private_segment_fixed_size: 0
    .sgpr_count:     30
    .sgpr_spill_count: 0
    .symbol:         _ZN4vllm42fused_add_rms_norm_static_fp8_quant_kernelIN3c108BFloat16ELi8ENS1_13Float8_e4m3fnEEENSt9enable_ifIXaagtT0_Li0Esr12_typeConvertIT_EE6existsEvE4typeEPT1_PS5_iSA_PKS5_PKffii.kd
    .uniform_work_group_size: 1
    .uses_dynamic_stack: false
    .vgpr_count:     24
    .vgpr_spill_count: 0
    .wavefront_size: 64
  - .agpr_count:     0
    .args:
      - .actual_access:  write_only
        .address_space:  global
        .offset:         0
        .size:           8
        .value_kind:     global_buffer
      - .actual_access:  read_only
        .address_space:  global
        .offset:         8
        .size:           8
        .value_kind:     global_buffer
      - .offset:         16
        .size:           4
        .value_kind:     by_value
      - .address_space:  global
        .offset:         24
        .size:           8
        .value_kind:     global_buffer
      - .actual_access:  read_only
        .address_space:  global
        .offset:         32
        .size:           8
        .value_kind:     global_buffer
      - .actual_access:  read_only
        .address_space:  global
        .offset:         40
        .size:           8
        .value_kind:     global_buffer
      - .offset:         48
        .size:           4
        .value_kind:     by_value
      - .offset:         52
        .size:           4
        .value_kind:     by_value
      - .offset:         56
        .size:           4
        .value_kind:     by_value
      - .offset:         64
        .size:           4
        .value_kind:     hidden_block_count_x
      - .offset:         68
        .size:           4
        .value_kind:     hidden_block_count_y
      - .offset:         72
        .size:           4
        .value_kind:     hidden_block_count_z
      - .offset:         76
        .size:           2
        .value_kind:     hidden_group_size_x
      - .offset:         78
        .size:           2
        .value_kind:     hidden_group_size_y
      - .offset:         80
        .size:           2
        .value_kind:     hidden_group_size_z
      - .offset:         82
        .size:           2
        .value_kind:     hidden_remainder_x
      - .offset:         84
        .size:           2
        .value_kind:     hidden_remainder_y
      - .offset:         86
        .size:           2
        .value_kind:     hidden_remainder_z
      - .offset:         104
        .size:           8
        .value_kind:     hidden_global_offset_x
      - .offset:         112
        .size:           8
        .value_kind:     hidden_global_offset_y
      - .offset:         120
        .size:           8
        .value_kind:     hidden_global_offset_z
      - .offset:         128
        .size:           2
        .value_kind:     hidden_grid_dims
    .group_segment_fixed_size: 68
    .kernarg_segment_align: 8
    .kernarg_segment_size: 320
    .language:       OpenCL C
    .language_version:
      - 2
      - 0
    .max_flat_workgroup_size: 1024
    .name:           _ZN4vllm42fused_add_rms_norm_static_fp8_quant_kernelIN3c108BFloat16ELi8ENS1_15Float8_e4m3fnuzEEENSt9enable_ifIXaagtT0_Li0Esr12_typeConvertIT_EE6existsEvE4typeEPT1_PS5_iSA_PKS5_PKffii
    .private_segment_fixed_size: 0
    .sgpr_count:     30
    .sgpr_spill_count: 0
    .symbol:         _ZN4vllm42fused_add_rms_norm_static_fp8_quant_kernelIN3c108BFloat16ELi8ENS1_15Float8_e4m3fnuzEEENSt9enable_ifIXaagtT0_Li0Esr12_typeConvertIT_EE6existsEvE4typeEPT1_PS5_iSA_PKS5_PKffii.kd
    .uniform_work_group_size: 1
    .uses_dynamic_stack: false
    .vgpr_count:     25
    .vgpr_spill_count: 0
    .wavefront_size: 64
  - .agpr_count:     0
    .args:
      - .actual_access:  write_only
        .address_space:  global
        .offset:         0
        .size:           8
        .value_kind:     global_buffer
      - .actual_access:  read_only
        .address_space:  global
        .offset:         8
        .size:           8
        .value_kind:     global_buffer
      - .offset:         16
        .size:           4
        .value_kind:     by_value
      - .address_space:  global
        .offset:         24
        .size:           8
        .value_kind:     global_buffer
      - .actual_access:  read_only
        .address_space:  global
        .offset:         32
        .size:           8
        .value_kind:     global_buffer
      - .actual_access:  read_only
        .address_space:  global
        .offset:         40
        .size:           8
        .value_kind:     global_buffer
      - .offset:         48
        .size:           4
        .value_kind:     by_value
      - .offset:         52
        .size:           4
        .value_kind:     by_value
      - .offset:         56
        .size:           4
        .value_kind:     by_value
      - .offset:         64
        .size:           4
        .value_kind:     hidden_block_count_x
      - .offset:         68
        .size:           4
        .value_kind:     hidden_block_count_y
      - .offset:         72
        .size:           4
        .value_kind:     hidden_block_count_z
      - .offset:         76
        .size:           2
        .value_kind:     hidden_group_size_x
      - .offset:         78
        .size:           2
        .value_kind:     hidden_group_size_y
      - .offset:         80
        .size:           2
        .value_kind:     hidden_group_size_z
      - .offset:         82
        .size:           2
        .value_kind:     hidden_remainder_x
      - .offset:         84
        .size:           2
        .value_kind:     hidden_remainder_y
      - .offset:         86
        .size:           2
        .value_kind:     hidden_remainder_z
      - .offset:         104
        .size:           8
        .value_kind:     hidden_global_offset_x
      - .offset:         112
        .size:           8
        .value_kind:     hidden_global_offset_y
      - .offset:         120
        .size:           8
        .value_kind:     hidden_global_offset_z
      - .offset:         128
        .size:           2
        .value_kind:     hidden_grid_dims
    .group_segment_fixed_size: 68
    .kernarg_segment_align: 8
    .kernarg_segment_size: 320
    .language:       OpenCL C
    .language_version:
      - 2
      - 0
    .max_flat_workgroup_size: 1024
    .name:           _ZN4vllm42fused_add_rms_norm_static_fp8_quant_kernelIfLi0EN3c1013Float8_e4m3fnEEENSt9enable_ifIXooeqT0_Li0Entsr12_typeConvertIT_EE6existsEvE4typeEPT1_PS4_iS9_PKS4_PKffii
    .private_segment_fixed_size: 0
    .sgpr_count:     27
    .sgpr_spill_count: 0
    .symbol:         _ZN4vllm42fused_add_rms_norm_static_fp8_quant_kernelIfLi0EN3c1013Float8_e4m3fnEEENSt9enable_ifIXooeqT0_Li0Entsr12_typeConvertIT_EE6existsEvE4typeEPT1_PS4_iS9_PKS4_PKffii.kd
    .uniform_work_group_size: 1
    .uses_dynamic_stack: false
    .vgpr_count:     10
    .vgpr_spill_count: 0
    .wavefront_size: 64
  - .agpr_count:     0
    .args:
      - .actual_access:  write_only
        .address_space:  global
        .offset:         0
        .size:           8
        .value_kind:     global_buffer
      - .actual_access:  read_only
        .address_space:  global
        .offset:         8
        .size:           8
        .value_kind:     global_buffer
      - .offset:         16
        .size:           4
        .value_kind:     by_value
      - .address_space:  global
        .offset:         24
        .size:           8
        .value_kind:     global_buffer
      - .actual_access:  read_only
        .address_space:  global
        .offset:         32
        .size:           8
        .value_kind:     global_buffer
      - .actual_access:  read_only
        .address_space:  global
        .offset:         40
        .size:           8
        .value_kind:     global_buffer
      - .offset:         48
        .size:           4
        .value_kind:     by_value
      - .offset:         52
        .size:           4
        .value_kind:     by_value
      - .offset:         56
        .size:           4
        .value_kind:     by_value
      - .offset:         64
        .size:           4
        .value_kind:     hidden_block_count_x
      - .offset:         68
        .size:           4
        .value_kind:     hidden_block_count_y
      - .offset:         72
        .size:           4
        .value_kind:     hidden_block_count_z
      - .offset:         76
        .size:           2
        .value_kind:     hidden_group_size_x
      - .offset:         78
        .size:           2
        .value_kind:     hidden_group_size_y
      - .offset:         80
        .size:           2
        .value_kind:     hidden_group_size_z
      - .offset:         82
        .size:           2
        .value_kind:     hidden_remainder_x
      - .offset:         84
        .size:           2
        .value_kind:     hidden_remainder_y
      - .offset:         86
        .size:           2
        .value_kind:     hidden_remainder_z
      - .offset:         104
        .size:           8
        .value_kind:     hidden_global_offset_x
      - .offset:         112
        .size:           8
        .value_kind:     hidden_global_offset_y
      - .offset:         120
        .size:           8
        .value_kind:     hidden_global_offset_z
      - .offset:         128
        .size:           2
        .value_kind:     hidden_grid_dims
    .group_segment_fixed_size: 68
    .kernarg_segment_align: 8
    .kernarg_segment_size: 320
    .language:       OpenCL C
    .language_version:
      - 2
      - 0
    .max_flat_workgroup_size: 1024
    .name:           _ZN4vllm42fused_add_rms_norm_static_fp8_quant_kernelIfLi0EN3c1015Float8_e4m3fnuzEEENSt9enable_ifIXooeqT0_Li0Entsr12_typeConvertIT_EE6existsEvE4typeEPT1_PS4_iS9_PKS4_PKffii
    .private_segment_fixed_size: 0
    .sgpr_count:     29
    .sgpr_spill_count: 0
    .symbol:         _ZN4vllm42fused_add_rms_norm_static_fp8_quant_kernelIfLi0EN3c1015Float8_e4m3fnuzEEENSt9enable_ifIXooeqT0_Li0Entsr12_typeConvertIT_EE6existsEvE4typeEPT1_PS4_iS9_PKS4_PKffii.kd
    .uniform_work_group_size: 1
    .uses_dynamic_stack: false
    .vgpr_count:     13
    .vgpr_spill_count: 0
    .wavefront_size: 64
  - .agpr_count:     0
    .args:
      - .actual_access:  write_only
        .address_space:  global
        .offset:         0
        .size:           8
        .value_kind:     global_buffer
      - .actual_access:  read_only
        .address_space:  global
        .offset:         8
        .size:           8
        .value_kind:     global_buffer
      - .offset:         16
        .size:           4
        .value_kind:     by_value
      - .address_space:  global
        .offset:         24
        .size:           8
        .value_kind:     global_buffer
      - .actual_access:  read_only
        .address_space:  global
        .offset:         32
        .size:           8
        .value_kind:     global_buffer
      - .actual_access:  read_only
        .address_space:  global
        .offset:         40
        .size:           8
        .value_kind:     global_buffer
      - .offset:         48
        .size:           4
        .value_kind:     by_value
      - .offset:         52
        .size:           4
        .value_kind:     by_value
      - .offset:         56
        .size:           4
        .value_kind:     by_value
      - .offset:         64
        .size:           4
        .value_kind:     hidden_block_count_x
      - .offset:         68
        .size:           4
        .value_kind:     hidden_block_count_y
      - .offset:         72
        .size:           4
        .value_kind:     hidden_block_count_z
      - .offset:         76
        .size:           2
        .value_kind:     hidden_group_size_x
      - .offset:         78
        .size:           2
        .value_kind:     hidden_group_size_y
      - .offset:         80
        .size:           2
        .value_kind:     hidden_group_size_z
      - .offset:         82
        .size:           2
        .value_kind:     hidden_remainder_x
      - .offset:         84
        .size:           2
        .value_kind:     hidden_remainder_y
      - .offset:         86
        .size:           2
        .value_kind:     hidden_remainder_z
      - .offset:         104
        .size:           8
        .value_kind:     hidden_global_offset_x
      - .offset:         112
        .size:           8
        .value_kind:     hidden_global_offset_y
      - .offset:         120
        .size:           8
        .value_kind:     hidden_global_offset_z
      - .offset:         128
        .size:           2
        .value_kind:     hidden_grid_dims
    .group_segment_fixed_size: 68
    .kernarg_segment_align: 8
    .kernarg_segment_size: 320
    .language:       OpenCL C
    .language_version:
      - 2
      - 0
    .max_flat_workgroup_size: 1024
    .name:           _ZN4vllm42fused_add_rms_norm_static_fp8_quant_kernelIN3c104HalfELi0ENS1_13Float8_e4m3fnEEENSt9enable_ifIXooeqT0_Li0Entsr12_typeConvertIT_EE6existsEvE4typeEPT1_PS5_iSA_PKS5_PKffii
    .private_segment_fixed_size: 0
    .sgpr_count:     27
    .sgpr_spill_count: 0
    .symbol:         _ZN4vllm42fused_add_rms_norm_static_fp8_quant_kernelIN3c104HalfELi0ENS1_13Float8_e4m3fnEEENSt9enable_ifIXooeqT0_Li0Entsr12_typeConvertIT_EE6existsEvE4typeEPT1_PS5_iSA_PKS5_PKffii.kd
    .uniform_work_group_size: 1
    .uses_dynamic_stack: false
    .vgpr_count:     10
    .vgpr_spill_count: 0
    .wavefront_size: 64
  - .agpr_count:     0
    .args:
      - .actual_access:  write_only
        .address_space:  global
        .offset:         0
        .size:           8
        .value_kind:     global_buffer
      - .actual_access:  read_only
        .address_space:  global
        .offset:         8
        .size:           8
        .value_kind:     global_buffer
      - .offset:         16
        .size:           4
        .value_kind:     by_value
      - .address_space:  global
        .offset:         24
        .size:           8
        .value_kind:     global_buffer
      - .actual_access:  read_only
        .address_space:  global
        .offset:         32
        .size:           8
        .value_kind:     global_buffer
      - .actual_access:  read_only
        .address_space:  global
        .offset:         40
        .size:           8
        .value_kind:     global_buffer
      - .offset:         48
        .size:           4
        .value_kind:     by_value
      - .offset:         52
        .size:           4
        .value_kind:     by_value
      - .offset:         56
        .size:           4
        .value_kind:     by_value
      - .offset:         64
        .size:           4
        .value_kind:     hidden_block_count_x
      - .offset:         68
        .size:           4
        .value_kind:     hidden_block_count_y
      - .offset:         72
        .size:           4
        .value_kind:     hidden_block_count_z
      - .offset:         76
        .size:           2
        .value_kind:     hidden_group_size_x
      - .offset:         78
        .size:           2
        .value_kind:     hidden_group_size_y
      - .offset:         80
        .size:           2
        .value_kind:     hidden_group_size_z
      - .offset:         82
        .size:           2
        .value_kind:     hidden_remainder_x
      - .offset:         84
        .size:           2
        .value_kind:     hidden_remainder_y
      - .offset:         86
        .size:           2
        .value_kind:     hidden_remainder_z
      - .offset:         104
        .size:           8
        .value_kind:     hidden_global_offset_x
      - .offset:         112
        .size:           8
        .value_kind:     hidden_global_offset_y
      - .offset:         120
        .size:           8
        .value_kind:     hidden_global_offset_z
      - .offset:         128
        .size:           2
        .value_kind:     hidden_grid_dims
    .group_segment_fixed_size: 68
    .kernarg_segment_align: 8
    .kernarg_segment_size: 320
    .language:       OpenCL C
    .language_version:
      - 2
      - 0
    .max_flat_workgroup_size: 1024
    .name:           _ZN4vllm42fused_add_rms_norm_static_fp8_quant_kernelIN3c104HalfELi0ENS1_15Float8_e4m3fnuzEEENSt9enable_ifIXooeqT0_Li0Entsr12_typeConvertIT_EE6existsEvE4typeEPT1_PS5_iSA_PKS5_PKffii
    .private_segment_fixed_size: 0
    .sgpr_count:     29
    .sgpr_spill_count: 0
    .symbol:         _ZN4vllm42fused_add_rms_norm_static_fp8_quant_kernelIN3c104HalfELi0ENS1_15Float8_e4m3fnuzEEENSt9enable_ifIXooeqT0_Li0Entsr12_typeConvertIT_EE6existsEvE4typeEPT1_PS5_iSA_PKS5_PKffii.kd
    .uniform_work_group_size: 1
    .uses_dynamic_stack: false
    .vgpr_count:     13
    .vgpr_spill_count: 0
    .wavefront_size: 64
  - .agpr_count:     0
    .args:
      - .actual_access:  write_only
        .address_space:  global
        .offset:         0
        .size:           8
        .value_kind:     global_buffer
      - .actual_access:  read_only
        .address_space:  global
        .offset:         8
        .size:           8
        .value_kind:     global_buffer
      - .offset:         16
        .size:           4
        .value_kind:     by_value
      - .address_space:  global
        .offset:         24
        .size:           8
        .value_kind:     global_buffer
      - .actual_access:  read_only
        .address_space:  global
        .offset:         32
        .size:           8
        .value_kind:     global_buffer
      - .actual_access:  read_only
        .address_space:  global
        .offset:         40
        .size:           8
        .value_kind:     global_buffer
      - .offset:         48
        .size:           4
        .value_kind:     by_value
      - .offset:         52
        .size:           4
        .value_kind:     by_value
      - .offset:         56
        .size:           4
        .value_kind:     by_value
      - .offset:         64
        .size:           4
        .value_kind:     hidden_block_count_x
      - .offset:         68
        .size:           4
        .value_kind:     hidden_block_count_y
      - .offset:         72
        .size:           4
        .value_kind:     hidden_block_count_z
      - .offset:         76
        .size:           2
        .value_kind:     hidden_group_size_x
      - .offset:         78
        .size:           2
        .value_kind:     hidden_group_size_y
      - .offset:         80
        .size:           2
        .value_kind:     hidden_group_size_z
      - .offset:         82
        .size:           2
        .value_kind:     hidden_remainder_x
      - .offset:         84
        .size:           2
        .value_kind:     hidden_remainder_y
      - .offset:         86
        .size:           2
        .value_kind:     hidden_remainder_z
      - .offset:         104
        .size:           8
        .value_kind:     hidden_global_offset_x
      - .offset:         112
        .size:           8
        .value_kind:     hidden_global_offset_y
      - .offset:         120
        .size:           8
        .value_kind:     hidden_global_offset_z
      - .offset:         128
        .size:           2
        .value_kind:     hidden_grid_dims
    .group_segment_fixed_size: 68
    .kernarg_segment_align: 8
    .kernarg_segment_size: 320
    .language:       OpenCL C
    .language_version:
      - 2
      - 0
    .max_flat_workgroup_size: 1024
    .name:           _ZN4vllm42fused_add_rms_norm_static_fp8_quant_kernelIN3c108BFloat16ELi0ENS1_13Float8_e4m3fnEEENSt9enable_ifIXooeqT0_Li0Entsr12_typeConvertIT_EE6existsEvE4typeEPT1_PS5_iSA_PKS5_PKffii
    .private_segment_fixed_size: 0
    .sgpr_count:     27
    .sgpr_spill_count: 0
    .symbol:         _ZN4vllm42fused_add_rms_norm_static_fp8_quant_kernelIN3c108BFloat16ELi0ENS1_13Float8_e4m3fnEEENSt9enable_ifIXooeqT0_Li0Entsr12_typeConvertIT_EE6existsEvE4typeEPT1_PS5_iSA_PKS5_PKffii.kd
    .uniform_work_group_size: 1
    .uses_dynamic_stack: false
    .vgpr_count:     11
    .vgpr_spill_count: 0
    .wavefront_size: 64
  - .agpr_count:     0
    .args:
      - .actual_access:  write_only
        .address_space:  global
        .offset:         0
        .size:           8
        .value_kind:     global_buffer
      - .actual_access:  read_only
        .address_space:  global
        .offset:         8
        .size:           8
        .value_kind:     global_buffer
      - .offset:         16
        .size:           4
        .value_kind:     by_value
      - .address_space:  global
        .offset:         24
        .size:           8
        .value_kind:     global_buffer
      - .actual_access:  read_only
        .address_space:  global
        .offset:         32
        .size:           8
        .value_kind:     global_buffer
      - .actual_access:  read_only
        .address_space:  global
        .offset:         40
        .size:           8
        .value_kind:     global_buffer
      - .offset:         48
        .size:           4
        .value_kind:     by_value
      - .offset:         52
        .size:           4
        .value_kind:     by_value
      - .offset:         56
        .size:           4
        .value_kind:     by_value
      - .offset:         64
        .size:           4
        .value_kind:     hidden_block_count_x
      - .offset:         68
        .size:           4
        .value_kind:     hidden_block_count_y
      - .offset:         72
        .size:           4
        .value_kind:     hidden_block_count_z
      - .offset:         76
        .size:           2
        .value_kind:     hidden_group_size_x
      - .offset:         78
        .size:           2
        .value_kind:     hidden_group_size_y
      - .offset:         80
        .size:           2
        .value_kind:     hidden_group_size_z
      - .offset:         82
        .size:           2
        .value_kind:     hidden_remainder_x
      - .offset:         84
        .size:           2
        .value_kind:     hidden_remainder_y
      - .offset:         86
        .size:           2
        .value_kind:     hidden_remainder_z
      - .offset:         104
        .size:           8
        .value_kind:     hidden_global_offset_x
      - .offset:         112
        .size:           8
        .value_kind:     hidden_global_offset_y
      - .offset:         120
        .size:           8
        .value_kind:     hidden_global_offset_z
      - .offset:         128
        .size:           2
        .value_kind:     hidden_grid_dims
    .group_segment_fixed_size: 68
    .kernarg_segment_align: 8
    .kernarg_segment_size: 320
    .language:       OpenCL C
    .language_version:
      - 2
      - 0
    .max_flat_workgroup_size: 1024
    .name:           _ZN4vllm42fused_add_rms_norm_static_fp8_quant_kernelIN3c108BFloat16ELi0ENS1_15Float8_e4m3fnuzEEENSt9enable_ifIXooeqT0_Li0Entsr12_typeConvertIT_EE6existsEvE4typeEPT1_PS5_iSA_PKS5_PKffii
    .private_segment_fixed_size: 0
    .sgpr_count:     29
    .sgpr_spill_count: 0
    .symbol:         _ZN4vllm42fused_add_rms_norm_static_fp8_quant_kernelIN3c108BFloat16ELi0ENS1_15Float8_e4m3fnuzEEENSt9enable_ifIXooeqT0_Li0Entsr12_typeConvertIT_EE6existsEvE4typeEPT1_PS5_iSA_PKS5_PKffii.kd
    .uniform_work_group_size: 1
    .uses_dynamic_stack: false
    .vgpr_count:     14
    .vgpr_spill_count: 0
    .wavefront_size: 64
amdhsa.target:   amdgcn-amd-amdhsa--gfx942
amdhsa.version:
  - 1
  - 2
...

	.end_amdgpu_metadata
